;; amdgpu-corpus repo=ROCm/rocFFT kind=compiled arch=gfx1100 opt=O3
	.text
	.amdgcn_target "amdgcn-amd-amdhsa--gfx1100"
	.amdhsa_code_object_version 6
	.protected	fft_rtc_fwd_len3240_factors_3_3_10_6_6_wgs_108_tpt_108_halfLds_dp_ip_CI_unitstride_sbrr_C2R_dirReg ; -- Begin function fft_rtc_fwd_len3240_factors_3_3_10_6_6_wgs_108_tpt_108_halfLds_dp_ip_CI_unitstride_sbrr_C2R_dirReg
	.globl	fft_rtc_fwd_len3240_factors_3_3_10_6_6_wgs_108_tpt_108_halfLds_dp_ip_CI_unitstride_sbrr_C2R_dirReg
	.p2align	8
	.type	fft_rtc_fwd_len3240_factors_3_3_10_6_6_wgs_108_tpt_108_halfLds_dp_ip_CI_unitstride_sbrr_C2R_dirReg,@function
fft_rtc_fwd_len3240_factors_3_3_10_6_6_wgs_108_tpt_108_halfLds_dp_ip_CI_unitstride_sbrr_C2R_dirReg: ; @fft_rtc_fwd_len3240_factors_3_3_10_6_6_wgs_108_tpt_108_halfLds_dp_ip_CI_unitstride_sbrr_C2R_dirReg
; %bb.0:
	s_clause 0x2
	s_load_b128 s[4:7], s[0:1], 0x0
	s_load_b64 s[8:9], s[0:1], 0x50
	s_load_b64 s[10:11], s[0:1], 0x18
	v_mul_u32_u24_e32 v1, 0x25f, v0
	v_mov_b32_e32 v3, 0
	v_mov_b32_e32 v4, 0
	s_delay_alu instid0(VALU_DEP_3) | instskip(SKIP_1) | instid1(VALU_DEP_1)
	v_lshrrev_b32_e32 v2, 16, v1
	v_mov_b32_e32 v1, 0
	v_dual_mov_b32 v6, v1 :: v_dual_add_nc_u32 v5, s15, v2
	s_waitcnt lgkmcnt(0)
	v_cmp_lt_u64_e64 s2, s[6:7], 2
	s_delay_alu instid0(VALU_DEP_1)
	s_and_b32 vcc_lo, exec_lo, s2
	s_cbranch_vccnz .LBB0_8
; %bb.1:
	s_load_b64 s[2:3], s[0:1], 0x10
	v_mov_b32_e32 v3, 0
	s_add_u32 s12, s10, 8
	v_mov_b32_e32 v4, 0
	s_addc_u32 s13, s11, 0
	s_mov_b64 s[16:17], 1
	s_waitcnt lgkmcnt(0)
	s_add_u32 s14, s2, 8
	s_addc_u32 s15, s3, 0
.LBB0_2:                                ; =>This Inner Loop Header: Depth=1
	s_load_b64 s[18:19], s[14:15], 0x0
                                        ; implicit-def: $vgpr7_vgpr8
	s_mov_b32 s2, exec_lo
	s_waitcnt lgkmcnt(0)
	v_or_b32_e32 v2, s19, v6
	s_delay_alu instid0(VALU_DEP_1)
	v_cmpx_ne_u64_e32 0, v[1:2]
	s_xor_b32 s3, exec_lo, s2
	s_cbranch_execz .LBB0_4
; %bb.3:                                ;   in Loop: Header=BB0_2 Depth=1
	v_cvt_f32_u32_e32 v2, s18
	v_cvt_f32_u32_e32 v7, s19
	s_sub_u32 s2, 0, s18
	s_subb_u32 s20, 0, s19
	s_delay_alu instid0(VALU_DEP_1) | instskip(NEXT) | instid1(VALU_DEP_1)
	v_fmac_f32_e32 v2, 0x4f800000, v7
	v_rcp_f32_e32 v2, v2
	s_waitcnt_depctr 0xfff
	v_mul_f32_e32 v2, 0x5f7ffffc, v2
	s_delay_alu instid0(VALU_DEP_1) | instskip(NEXT) | instid1(VALU_DEP_1)
	v_mul_f32_e32 v7, 0x2f800000, v2
	v_trunc_f32_e32 v7, v7
	s_delay_alu instid0(VALU_DEP_1) | instskip(SKIP_1) | instid1(VALU_DEP_2)
	v_fmac_f32_e32 v2, 0xcf800000, v7
	v_cvt_u32_f32_e32 v7, v7
	v_cvt_u32_f32_e32 v2, v2
	s_delay_alu instid0(VALU_DEP_2) | instskip(NEXT) | instid1(VALU_DEP_2)
	v_mul_lo_u32 v8, s2, v7
	v_mul_hi_u32 v9, s2, v2
	v_mul_lo_u32 v10, s20, v2
	s_delay_alu instid0(VALU_DEP_2) | instskip(SKIP_1) | instid1(VALU_DEP_2)
	v_add_nc_u32_e32 v8, v9, v8
	v_mul_lo_u32 v9, s2, v2
	v_add_nc_u32_e32 v8, v8, v10
	s_delay_alu instid0(VALU_DEP_2) | instskip(NEXT) | instid1(VALU_DEP_2)
	v_mul_hi_u32 v10, v2, v9
	v_mul_lo_u32 v11, v2, v8
	v_mul_hi_u32 v12, v2, v8
	v_mul_hi_u32 v13, v7, v9
	v_mul_lo_u32 v9, v7, v9
	v_mul_hi_u32 v14, v7, v8
	v_mul_lo_u32 v8, v7, v8
	v_add_co_u32 v10, vcc_lo, v10, v11
	v_add_co_ci_u32_e32 v11, vcc_lo, 0, v12, vcc_lo
	s_delay_alu instid0(VALU_DEP_2) | instskip(NEXT) | instid1(VALU_DEP_2)
	v_add_co_u32 v9, vcc_lo, v10, v9
	v_add_co_ci_u32_e32 v9, vcc_lo, v11, v13, vcc_lo
	v_add_co_ci_u32_e32 v10, vcc_lo, 0, v14, vcc_lo
	s_delay_alu instid0(VALU_DEP_2) | instskip(NEXT) | instid1(VALU_DEP_2)
	v_add_co_u32 v8, vcc_lo, v9, v8
	v_add_co_ci_u32_e32 v9, vcc_lo, 0, v10, vcc_lo
	s_delay_alu instid0(VALU_DEP_2) | instskip(NEXT) | instid1(VALU_DEP_2)
	v_add_co_u32 v2, vcc_lo, v2, v8
	v_add_co_ci_u32_e32 v7, vcc_lo, v7, v9, vcc_lo
	s_delay_alu instid0(VALU_DEP_2) | instskip(SKIP_1) | instid1(VALU_DEP_3)
	v_mul_hi_u32 v8, s2, v2
	v_mul_lo_u32 v10, s20, v2
	v_mul_lo_u32 v9, s2, v7
	s_delay_alu instid0(VALU_DEP_1) | instskip(SKIP_1) | instid1(VALU_DEP_2)
	v_add_nc_u32_e32 v8, v8, v9
	v_mul_lo_u32 v9, s2, v2
	v_add_nc_u32_e32 v8, v8, v10
	s_delay_alu instid0(VALU_DEP_2) | instskip(NEXT) | instid1(VALU_DEP_2)
	v_mul_hi_u32 v10, v2, v9
	v_mul_lo_u32 v11, v2, v8
	v_mul_hi_u32 v12, v2, v8
	v_mul_hi_u32 v13, v7, v9
	v_mul_lo_u32 v9, v7, v9
	v_mul_hi_u32 v14, v7, v8
	v_mul_lo_u32 v8, v7, v8
	v_add_co_u32 v10, vcc_lo, v10, v11
	v_add_co_ci_u32_e32 v11, vcc_lo, 0, v12, vcc_lo
	s_delay_alu instid0(VALU_DEP_2) | instskip(NEXT) | instid1(VALU_DEP_2)
	v_add_co_u32 v9, vcc_lo, v10, v9
	v_add_co_ci_u32_e32 v9, vcc_lo, v11, v13, vcc_lo
	v_add_co_ci_u32_e32 v10, vcc_lo, 0, v14, vcc_lo
	s_delay_alu instid0(VALU_DEP_2) | instskip(NEXT) | instid1(VALU_DEP_2)
	v_add_co_u32 v8, vcc_lo, v9, v8
	v_add_co_ci_u32_e32 v9, vcc_lo, 0, v10, vcc_lo
	s_delay_alu instid0(VALU_DEP_2) | instskip(NEXT) | instid1(VALU_DEP_2)
	v_add_co_u32 v2, vcc_lo, v2, v8
	v_add_co_ci_u32_e32 v13, vcc_lo, v7, v9, vcc_lo
	s_delay_alu instid0(VALU_DEP_2) | instskip(SKIP_1) | instid1(VALU_DEP_3)
	v_mul_hi_u32 v14, v5, v2
	v_mad_u64_u32 v[9:10], null, v6, v2, 0
	v_mad_u64_u32 v[7:8], null, v5, v13, 0
	;; [unrolled: 1-line block ×3, first 2 shown]
	s_delay_alu instid0(VALU_DEP_2) | instskip(NEXT) | instid1(VALU_DEP_3)
	v_add_co_u32 v2, vcc_lo, v14, v7
	v_add_co_ci_u32_e32 v7, vcc_lo, 0, v8, vcc_lo
	s_delay_alu instid0(VALU_DEP_2) | instskip(NEXT) | instid1(VALU_DEP_2)
	v_add_co_u32 v2, vcc_lo, v2, v9
	v_add_co_ci_u32_e32 v2, vcc_lo, v7, v10, vcc_lo
	v_add_co_ci_u32_e32 v7, vcc_lo, 0, v12, vcc_lo
	s_delay_alu instid0(VALU_DEP_2) | instskip(NEXT) | instid1(VALU_DEP_2)
	v_add_co_u32 v2, vcc_lo, v2, v11
	v_add_co_ci_u32_e32 v9, vcc_lo, 0, v7, vcc_lo
	s_delay_alu instid0(VALU_DEP_2) | instskip(SKIP_1) | instid1(VALU_DEP_3)
	v_mul_lo_u32 v10, s19, v2
	v_mad_u64_u32 v[7:8], null, s18, v2, 0
	v_mul_lo_u32 v11, s18, v9
	s_delay_alu instid0(VALU_DEP_2) | instskip(NEXT) | instid1(VALU_DEP_2)
	v_sub_co_u32 v7, vcc_lo, v5, v7
	v_add3_u32 v8, v8, v11, v10
	s_delay_alu instid0(VALU_DEP_1) | instskip(NEXT) | instid1(VALU_DEP_1)
	v_sub_nc_u32_e32 v10, v6, v8
	v_subrev_co_ci_u32_e64 v10, s2, s19, v10, vcc_lo
	v_add_co_u32 v11, s2, v2, 2
	s_delay_alu instid0(VALU_DEP_1) | instskip(SKIP_3) | instid1(VALU_DEP_3)
	v_add_co_ci_u32_e64 v12, s2, 0, v9, s2
	v_sub_co_u32 v13, s2, v7, s18
	v_sub_co_ci_u32_e32 v8, vcc_lo, v6, v8, vcc_lo
	v_subrev_co_ci_u32_e64 v10, s2, 0, v10, s2
	v_cmp_le_u32_e32 vcc_lo, s18, v13
	s_delay_alu instid0(VALU_DEP_3) | instskip(SKIP_1) | instid1(VALU_DEP_4)
	v_cmp_eq_u32_e64 s2, s19, v8
	v_cndmask_b32_e64 v13, 0, -1, vcc_lo
	v_cmp_le_u32_e32 vcc_lo, s19, v10
	v_cndmask_b32_e64 v14, 0, -1, vcc_lo
	v_cmp_le_u32_e32 vcc_lo, s18, v7
	;; [unrolled: 2-line block ×3, first 2 shown]
	v_cndmask_b32_e64 v15, 0, -1, vcc_lo
	v_cmp_eq_u32_e32 vcc_lo, s19, v10
	s_delay_alu instid0(VALU_DEP_2) | instskip(SKIP_3) | instid1(VALU_DEP_3)
	v_cndmask_b32_e64 v7, v15, v7, s2
	v_cndmask_b32_e32 v10, v14, v13, vcc_lo
	v_add_co_u32 v13, vcc_lo, v2, 1
	v_add_co_ci_u32_e32 v14, vcc_lo, 0, v9, vcc_lo
	v_cmp_ne_u32_e32 vcc_lo, 0, v10
	s_delay_alu instid0(VALU_DEP_2) | instskip(NEXT) | instid1(VALU_DEP_4)
	v_cndmask_b32_e32 v8, v14, v12, vcc_lo
	v_cndmask_b32_e32 v10, v13, v11, vcc_lo
	v_cmp_ne_u32_e32 vcc_lo, 0, v7
	s_delay_alu instid0(VALU_DEP_2)
	v_dual_cndmask_b32 v7, v2, v10 :: v_dual_cndmask_b32 v8, v9, v8
.LBB0_4:                                ;   in Loop: Header=BB0_2 Depth=1
	s_and_not1_saveexec_b32 s2, s3
	s_cbranch_execz .LBB0_6
; %bb.5:                                ;   in Loop: Header=BB0_2 Depth=1
	v_cvt_f32_u32_e32 v2, s18
	s_sub_i32 s3, 0, s18
	s_delay_alu instid0(VALU_DEP_1) | instskip(SKIP_2) | instid1(VALU_DEP_1)
	v_rcp_iflag_f32_e32 v2, v2
	s_waitcnt_depctr 0xfff
	v_mul_f32_e32 v2, 0x4f7ffffe, v2
	v_cvt_u32_f32_e32 v2, v2
	s_delay_alu instid0(VALU_DEP_1) | instskip(NEXT) | instid1(VALU_DEP_1)
	v_mul_lo_u32 v7, s3, v2
	v_mul_hi_u32 v7, v2, v7
	s_delay_alu instid0(VALU_DEP_1) | instskip(NEXT) | instid1(VALU_DEP_1)
	v_add_nc_u32_e32 v2, v2, v7
	v_mul_hi_u32 v2, v5, v2
	s_delay_alu instid0(VALU_DEP_1) | instskip(SKIP_1) | instid1(VALU_DEP_2)
	v_mul_lo_u32 v7, v2, s18
	v_add_nc_u32_e32 v8, 1, v2
	v_sub_nc_u32_e32 v7, v5, v7
	s_delay_alu instid0(VALU_DEP_1) | instskip(SKIP_1) | instid1(VALU_DEP_2)
	v_subrev_nc_u32_e32 v9, s18, v7
	v_cmp_le_u32_e32 vcc_lo, s18, v7
	v_dual_cndmask_b32 v7, v7, v9 :: v_dual_cndmask_b32 v2, v2, v8
	s_delay_alu instid0(VALU_DEP_1) | instskip(NEXT) | instid1(VALU_DEP_2)
	v_cmp_le_u32_e32 vcc_lo, s18, v7
	v_add_nc_u32_e32 v8, 1, v2
	s_delay_alu instid0(VALU_DEP_1)
	v_dual_cndmask_b32 v7, v2, v8 :: v_dual_mov_b32 v8, v1
.LBB0_6:                                ;   in Loop: Header=BB0_2 Depth=1
	s_or_b32 exec_lo, exec_lo, s2
	s_load_b64 s[2:3], s[12:13], 0x0
	s_delay_alu instid0(VALU_DEP_1) | instskip(NEXT) | instid1(VALU_DEP_2)
	v_mul_lo_u32 v2, v8, s18
	v_mul_lo_u32 v11, v7, s19
	v_mad_u64_u32 v[9:10], null, v7, s18, 0
	s_add_u32 s16, s16, 1
	s_addc_u32 s17, s17, 0
	s_add_u32 s12, s12, 8
	s_addc_u32 s13, s13, 0
	;; [unrolled: 2-line block ×3, first 2 shown]
	s_delay_alu instid0(VALU_DEP_1) | instskip(SKIP_1) | instid1(VALU_DEP_2)
	v_add3_u32 v2, v10, v11, v2
	v_sub_co_u32 v9, vcc_lo, v5, v9
	v_sub_co_ci_u32_e32 v2, vcc_lo, v6, v2, vcc_lo
	s_waitcnt lgkmcnt(0)
	s_delay_alu instid0(VALU_DEP_2) | instskip(NEXT) | instid1(VALU_DEP_2)
	v_mul_lo_u32 v10, s3, v9
	v_mul_lo_u32 v2, s2, v2
	v_mad_u64_u32 v[5:6], null, s2, v9, v[3:4]
	v_cmp_ge_u64_e64 s2, s[16:17], s[6:7]
	s_delay_alu instid0(VALU_DEP_1) | instskip(NEXT) | instid1(VALU_DEP_2)
	s_and_b32 vcc_lo, exec_lo, s2
	v_add3_u32 v4, v10, v6, v2
	s_delay_alu instid0(VALU_DEP_3)
	v_mov_b32_e32 v3, v5
	s_cbranch_vccnz .LBB0_9
; %bb.7:                                ;   in Loop: Header=BB0_2 Depth=1
	v_dual_mov_b32 v5, v7 :: v_dual_mov_b32 v6, v8
	s_branch .LBB0_2
.LBB0_8:
	v_dual_mov_b32 v8, v6 :: v_dual_mov_b32 v7, v5
.LBB0_9:
	s_lshl_b64 s[2:3], s[6:7], 3
	s_delay_alu instid0(SALU_CYCLE_1)
	s_add_u32 s2, s10, s2
	s_addc_u32 s3, s11, s3
	s_load_b64 s[2:3], s[2:3], 0x0
	s_load_b64 s[0:1], s[0:1], 0x20
	s_waitcnt lgkmcnt(0)
	v_mul_lo_u32 v5, s2, v8
	v_mul_lo_u32 v6, s3, v7
	v_mad_u64_u32 v[1:2], null, s2, v7, v[3:4]
	v_mul_hi_u32 v3, 0x25ed098, v0
	v_cmp_gt_u64_e32 vcc_lo, s[0:1], v[7:8]
	s_delay_alu instid0(VALU_DEP_3) | instskip(NEXT) | instid1(VALU_DEP_3)
	v_add3_u32 v2, v6, v2, v5
	v_mul_u32_u24_e32 v3, 0x6c, v3
	s_delay_alu instid0(VALU_DEP_2) | instskip(NEXT) | instid1(VALU_DEP_2)
	v_lshlrev_b64 v[1:2], 4, v[1:2]
	v_sub_nc_u32_e32 v152, v0, v3
	scratch_store_b64 off, v[1:2], off      ; 8-byte Folded Spill
	s_and_saveexec_b32 s1, vcc_lo
	s_cbranch_execz .LBB0_13
; %bb.10:
	scratch_load_b64 v[0:1], off, off       ; 8-byte Folded Reload
	v_mov_b32_e32 v153, 0
	v_lshl_add_u32 v122, v152, 4, 0
	s_delay_alu instid0(VALU_DEP_2) | instskip(SKIP_2) | instid1(VALU_DEP_1)
	v_lshlrev_b64 v[2:3], 4, v[152:153]
	s_waitcnt vmcnt(0)
	v_add_co_u32 v0, s0, s8, v0
	v_add_co_ci_u32_e64 v1, s0, s9, v1, s0
	s_delay_alu instid0(VALU_DEP_2) | instskip(NEXT) | instid1(VALU_DEP_1)
	v_add_co_u32 v114, s0, v0, v2
	v_add_co_ci_u32_e64 v115, s0, v1, v3, s0
	s_delay_alu instid0(VALU_DEP_2) | instskip(NEXT) | instid1(VALU_DEP_1)
	v_add_co_u32 v14, s0, 0x1000, v114
	v_add_co_ci_u32_e64 v15, s0, 0, v115, s0
	v_add_co_u32 v26, s0, 0x2000, v114
	s_delay_alu instid0(VALU_DEP_1) | instskip(SKIP_1) | instid1(VALU_DEP_1)
	v_add_co_ci_u32_e64 v27, s0, 0, v115, s0
	v_add_co_u32 v34, s0, 0x3000, v114
	v_add_co_ci_u32_e64 v35, s0, 0, v115, s0
	v_add_co_u32 v42, s0, 0x4000, v114
	s_delay_alu instid0(VALU_DEP_1) | instskip(SKIP_1) | instid1(VALU_DEP_1)
	v_add_co_ci_u32_e64 v43, s0, 0, v115, s0
	;; [unrolled: 5-line block ×5, first 2 shown]
	v_add_co_u32 v110, s0, 0xb000, v114
	v_add_co_ci_u32_e64 v111, s0, 0, v115, s0
	v_add_co_u32 v118, s0, 0xc000, v114
	s_delay_alu instid0(VALU_DEP_1)
	v_add_co_ci_u32_e64 v119, s0, 0, v115, s0
	s_clause 0x1d
	global_load_b128 v[2:5], v[114:115], off offset:1728
	global_load_b128 v[6:9], v[114:115], off offset:3456
	;; [unrolled: 1-line block ×28, first 2 shown]
	global_load_b128 v[114:117], v[114:115], off
	global_load_b128 v[118:121], v[118:119], off offset:960
	v_cmp_eq_u32_e64 s0, 0x6b, v152
	s_waitcnt vmcnt(29)
	ds_store_b128 v122, v[2:5] offset:1728
	s_waitcnt vmcnt(28)
	ds_store_b128 v122, v[6:9] offset:3456
	;; [unrolled: 2-line block ×28, first 2 shown]
	s_waitcnt vmcnt(1)
	ds_store_b128 v122, v[114:117]
	s_waitcnt vmcnt(0)
	ds_store_b128 v122, v[118:121] offset:50112
	s_and_saveexec_b32 s2, s0
	s_cbranch_execz .LBB0_12
; %bb.11:
	v_add_co_u32 v0, s0, 0xc000, v0
	s_delay_alu instid0(VALU_DEP_1)
	v_add_co_ci_u32_e64 v1, s0, 0, v1, s0
	v_mov_b32_e32 v152, 0x6b
	global_load_b128 v[0:3], v[0:1], off offset:2688
	s_waitcnt vmcnt(0)
	ds_store_b128 v153, v[0:3] offset:51840
.LBB0_12:
	s_or_b32 exec_lo, exec_lo, s2
.LBB0_13:
	s_delay_alu instid0(SALU_CYCLE_1)
	s_or_b32 exec_lo, exec_lo, s1
	v_lshlrev_b32_e32 v0, 4, v152
	s_waitcnt lgkmcnt(0)
	s_waitcnt_vscnt null, 0x0
	s_barrier
	buffer_gl0_inv
	s_add_u32 s1, s4, 0xca50
	v_add_nc_u32_e32 v164, 0, v0
	v_sub_nc_u32_e32 v14, 0, v0
	s_addc_u32 s2, s5, 0
	s_mov_b32 s3, exec_lo
                                        ; implicit-def: $vgpr4_vgpr5
	ds_load_b64 v[6:7], v164
	ds_load_b64 v[8:9], v14 offset:51840
	s_waitcnt lgkmcnt(0)
	v_add_f64 v[0:1], v[6:7], v[8:9]
	v_add_f64 v[2:3], v[6:7], -v[8:9]
	v_cmpx_ne_u32_e32 0, v152
	s_xor_b32 s3, exec_lo, s3
	s_cbranch_execz .LBB0_15
; %bb.14:
	v_mov_b32_e32 v153, 0
	v_add_f64 v[12:13], v[6:7], v[8:9]
	v_add_f64 v[15:16], v[6:7], -v[8:9]
	s_delay_alu instid0(VALU_DEP_3) | instskip(NEXT) | instid1(VALU_DEP_1)
	v_lshlrev_b64 v[0:1], 4, v[152:153]
	v_add_co_u32 v0, s0, s1, v0
	s_delay_alu instid0(VALU_DEP_1)
	v_add_co_ci_u32_e64 v1, s0, s2, v1, s0
	global_load_b128 v[2:5], v[0:1], off
	ds_load_b64 v[0:1], v14 offset:51848
	ds_load_b64 v[10:11], v164 offset:8
	s_waitcnt lgkmcnt(0)
	v_add_f64 v[6:7], v[0:1], v[10:11]
	v_add_f64 v[0:1], v[10:11], -v[0:1]
	s_waitcnt vmcnt(0)
	v_fma_f64 v[8:9], v[15:16], v[4:5], v[12:13]
	v_fma_f64 v[10:11], -v[15:16], v[4:5], v[12:13]
	s_delay_alu instid0(VALU_DEP_3) | instskip(SKIP_1) | instid1(VALU_DEP_4)
	v_fma_f64 v[12:13], v[6:7], v[4:5], -v[0:1]
	v_fma_f64 v[4:5], v[6:7], v[4:5], v[0:1]
	v_fma_f64 v[0:1], -v[6:7], v[2:3], v[8:9]
	s_delay_alu instid0(VALU_DEP_4) | instskip(NEXT) | instid1(VALU_DEP_4)
	v_fma_f64 v[6:7], v[6:7], v[2:3], v[10:11]
	v_fma_f64 v[8:9], v[15:16], v[2:3], v[12:13]
	s_delay_alu instid0(VALU_DEP_4)
	v_fma_f64 v[2:3], v[15:16], v[2:3], v[4:5]
	v_dual_mov_b32 v4, v152 :: v_dual_mov_b32 v5, v153
	ds_store_b128 v14, v[6:9] offset:51840
.LBB0_15:
	s_and_not1_saveexec_b32 s0, s3
	s_cbranch_execz .LBB0_17
; %bb.16:
	v_mov_b32_e32 v12, 0
	ds_load_b128 v[4:7], v12 offset:25920
	s_waitcnt lgkmcnt(0)
	v_add_f64 v[8:9], v[4:5], v[4:5]
	v_mul_f64 v[10:11], v[6:7], -2.0
	v_mov_b32_e32 v4, 0
	v_mov_b32_e32 v5, 0
	ds_store_b128 v12, v[8:11] offset:25920
.LBB0_17:
	s_or_b32 exec_lo, exec_lo, s0
	v_lshlrev_b64 v[4:5], 4, v[4:5]
	v_and_b32_e32 v80, 0xff, v152
	v_add_nc_u16 v122, v152, 0x6c
	v_add_nc_u32_e32 v79, 0x288, v152
	v_add_nc_u32_e32 v120, 0xd8, v152
	;; [unrolled: 1-line block ×3, first 2 shown]
	v_add_co_u32 v4, s0, s1, v4
	s_delay_alu instid0(VALU_DEP_1) | instskip(SKIP_1) | instid1(VALU_DEP_3)
	v_add_co_ci_u32_e64 v5, s0, s2, v5, s0
	v_and_b32_e32 v127, 0xff, v122
	v_add_co_u32 v23, s0, 0x1000, v4
	s_clause 0x1
	global_load_b128 v[6:9], v[4:5], off offset:1728
	global_load_b128 v[10:13], v[4:5], off offset:3456
	ds_store_b128 v164, v[0:3]
	ds_load_b128 v[0:3], v164 offset:1728
	ds_load_b128 v[15:18], v14 offset:50112
	v_add_co_ci_u32_e64 v24, s0, 0, v5, s0
	v_add_nc_u32_e32 v123, 0x1b0, v152
	v_add_nc_u32_e32 v153, 0x2f4, v152
	;; [unrolled: 1-line block ×3, first 2 shown]
	global_load_b128 v[19:22], v[23:24], off offset:1088
	v_add_nc_u32_e32 v238, 0x3cc, v152
	v_and_b32_e32 v126, 0xffff, v120
	v_and_b32_e32 v125, 0xffff, v121
	;; [unrolled: 1-line block ×3, first 2 shown]
	s_mov_b32 s6, 0xe8584caa
	s_mov_b32 s7, 0x3febb67a
	;; [unrolled: 1-line block ×9, first 2 shown]
	s_waitcnt lgkmcnt(0)
	v_add_f64 v[25:26], v[0:1], v[15:16]
	v_add_f64 v[27:28], v[17:18], v[2:3]
	v_add_f64 v[29:30], v[0:1], -v[15:16]
	v_add_f64 v[0:1], v[2:3], -v[17:18]
	s_mov_b32 s11, 0x3fe2cf23
	s_mov_b32 s15, 0xbfe2cf23
	;; [unrolled: 1-line block ×7, first 2 shown]
	s_waitcnt vmcnt(2)
	s_delay_alu instid0(VALU_DEP_2) | instskip(NEXT) | instid1(VALU_DEP_2)
	v_fma_f64 v[2:3], v[29:30], v[8:9], v[25:26]
	v_fma_f64 v[15:16], v[27:28], v[8:9], v[0:1]
	v_fma_f64 v[17:18], -v[29:30], v[8:9], v[25:26]
	v_fma_f64 v[8:9], v[27:28], v[8:9], -v[0:1]
	s_delay_alu instid0(VALU_DEP_4) | instskip(NEXT) | instid1(VALU_DEP_4)
	v_fma_f64 v[0:1], -v[27:28], v[6:7], v[2:3]
	v_fma_f64 v[2:3], v[29:30], v[6:7], v[15:16]
	s_delay_alu instid0(VALU_DEP_4) | instskip(NEXT) | instid1(VALU_DEP_4)
	v_fma_f64 v[15:16], v[27:28], v[6:7], v[17:18]
	v_fma_f64 v[17:18], v[29:30], v[6:7], v[8:9]
	ds_store_b128 v164, v[0:3] offset:1728
	ds_store_b128 v14, v[15:18] offset:50112
	ds_load_b128 v[0:3], v164 offset:3456
	ds_load_b128 v[6:9], v14 offset:48384
	global_load_b128 v[15:18], v[23:24], off offset:2816
	s_waitcnt lgkmcnt(0)
	v_add_f64 v[23:24], v[0:1], v[6:7]
	v_add_f64 v[25:26], v[8:9], v[2:3]
	v_add_f64 v[27:28], v[0:1], -v[6:7]
	v_add_f64 v[0:1], v[2:3], -v[8:9]
	s_waitcnt vmcnt(2)
	s_delay_alu instid0(VALU_DEP_2) | instskip(NEXT) | instid1(VALU_DEP_2)
	v_fma_f64 v[2:3], v[27:28], v[12:13], v[23:24]
	v_fma_f64 v[6:7], v[25:26], v[12:13], v[0:1]
	v_fma_f64 v[8:9], -v[27:28], v[12:13], v[23:24]
	v_fma_f64 v[12:13], v[25:26], v[12:13], -v[0:1]
	v_add_co_u32 v23, s0, 0x2000, v4
	s_delay_alu instid0(VALU_DEP_1)
	v_add_co_ci_u32_e64 v24, s0, 0, v5, s0
	v_fma_f64 v[0:1], -v[25:26], v[10:11], v[2:3]
	v_fma_f64 v[2:3], v[27:28], v[10:11], v[6:7]
	v_fma_f64 v[6:7], v[25:26], v[10:11], v[8:9]
	;; [unrolled: 1-line block ×3, first 2 shown]
	ds_store_b128 v164, v[0:3] offset:3456
	ds_store_b128 v14, v[6:9] offset:48384
	ds_load_b128 v[0:3], v164 offset:5184
	ds_load_b128 v[6:9], v14 offset:46656
	global_load_b128 v[10:13], v[23:24], off offset:448
	s_waitcnt lgkmcnt(0)
	v_add_f64 v[25:26], v[0:1], v[6:7]
	v_add_f64 v[27:28], v[8:9], v[2:3]
	v_add_f64 v[29:30], v[0:1], -v[6:7]
	v_add_f64 v[0:1], v[2:3], -v[8:9]
	s_waitcnt vmcnt(2)
	s_delay_alu instid0(VALU_DEP_2) | instskip(NEXT) | instid1(VALU_DEP_2)
	v_fma_f64 v[2:3], v[29:30], v[21:22], v[25:26]
	v_fma_f64 v[6:7], v[27:28], v[21:22], v[0:1]
	v_fma_f64 v[8:9], -v[29:30], v[21:22], v[25:26]
	v_fma_f64 v[21:22], v[27:28], v[21:22], -v[0:1]
	s_delay_alu instid0(VALU_DEP_4) | instskip(NEXT) | instid1(VALU_DEP_4)
	v_fma_f64 v[0:1], -v[27:28], v[19:20], v[2:3]
	v_fma_f64 v[2:3], v[29:30], v[19:20], v[6:7]
	s_delay_alu instid0(VALU_DEP_4) | instskip(NEXT) | instid1(VALU_DEP_4)
	v_fma_f64 v[6:7], v[27:28], v[19:20], v[8:9]
	v_fma_f64 v[8:9], v[29:30], v[19:20], v[21:22]
	ds_store_b128 v164, v[0:3] offset:5184
	ds_store_b128 v14, v[6:9] offset:46656
	ds_load_b128 v[0:3], v164 offset:6912
	ds_load_b128 v[6:9], v14 offset:44928
	global_load_b128 v[19:22], v[23:24], off offset:2176
	s_waitcnt lgkmcnt(0)
	v_add_f64 v[25:26], v[0:1], v[6:7]
	v_add_f64 v[27:28], v[8:9], v[2:3]
	v_add_f64 v[29:30], v[0:1], -v[6:7]
	v_add_f64 v[0:1], v[2:3], -v[8:9]
	s_waitcnt vmcnt(2)
	s_delay_alu instid0(VALU_DEP_2) | instskip(NEXT) | instid1(VALU_DEP_2)
	v_fma_f64 v[2:3], v[29:30], v[17:18], v[25:26]
	v_fma_f64 v[6:7], v[27:28], v[17:18], v[0:1]
	v_fma_f64 v[8:9], -v[29:30], v[17:18], v[25:26]
	v_fma_f64 v[17:18], v[27:28], v[17:18], -v[0:1]
	s_delay_alu instid0(VALU_DEP_4) | instskip(NEXT) | instid1(VALU_DEP_4)
	v_fma_f64 v[0:1], -v[27:28], v[15:16], v[2:3]
	v_fma_f64 v[2:3], v[29:30], v[15:16], v[6:7]
	s_delay_alu instid0(VALU_DEP_4) | instskip(NEXT) | instid1(VALU_DEP_4)
	v_fma_f64 v[6:7], v[27:28], v[15:16], v[8:9]
	v_fma_f64 v[8:9], v[29:30], v[15:16], v[17:18]
	ds_store_b128 v164, v[0:3] offset:6912
	ds_store_b128 v14, v[6:9] offset:44928
	ds_load_b128 v[0:3], v164 offset:8640
	ds_load_b128 v[6:9], v14 offset:43200
	global_load_b128 v[15:18], v[23:24], off offset:3904
	s_waitcnt lgkmcnt(0)
	v_add_f64 v[23:24], v[0:1], v[6:7]
	v_add_f64 v[25:26], v[8:9], v[2:3]
	v_add_f64 v[27:28], v[0:1], -v[6:7]
	v_add_f64 v[0:1], v[2:3], -v[8:9]
	s_waitcnt vmcnt(2)
	s_delay_alu instid0(VALU_DEP_2) | instskip(NEXT) | instid1(VALU_DEP_2)
	v_fma_f64 v[2:3], v[27:28], v[12:13], v[23:24]
	v_fma_f64 v[6:7], v[25:26], v[12:13], v[0:1]
	v_fma_f64 v[8:9], -v[27:28], v[12:13], v[23:24]
	v_fma_f64 v[12:13], v[25:26], v[12:13], -v[0:1]
	v_add_co_u32 v23, s0, 0x3000, v4
	s_delay_alu instid0(VALU_DEP_1)
	v_add_co_ci_u32_e64 v24, s0, 0, v5, s0
	v_fma_f64 v[0:1], -v[25:26], v[10:11], v[2:3]
	v_fma_f64 v[2:3], v[27:28], v[10:11], v[6:7]
	v_fma_f64 v[6:7], v[25:26], v[10:11], v[8:9]
	;; [unrolled: 1-line block ×3, first 2 shown]
	ds_store_b128 v164, v[0:3] offset:8640
	ds_store_b128 v14, v[6:9] offset:43200
	ds_load_b128 v[0:3], v164 offset:10368
	ds_load_b128 v[6:9], v14 offset:41472
	global_load_b128 v[10:13], v[23:24], off offset:1536
	s_waitcnt lgkmcnt(0)
	v_add_f64 v[25:26], v[0:1], v[6:7]
	v_add_f64 v[27:28], v[8:9], v[2:3]
	v_add_f64 v[29:30], v[0:1], -v[6:7]
	v_add_f64 v[0:1], v[2:3], -v[8:9]
	s_waitcnt vmcnt(2)
	s_delay_alu instid0(VALU_DEP_2) | instskip(NEXT) | instid1(VALU_DEP_2)
	v_fma_f64 v[2:3], v[29:30], v[21:22], v[25:26]
	v_fma_f64 v[6:7], v[27:28], v[21:22], v[0:1]
	v_fma_f64 v[8:9], -v[29:30], v[21:22], v[25:26]
	v_fma_f64 v[21:22], v[27:28], v[21:22], -v[0:1]
	s_delay_alu instid0(VALU_DEP_4) | instskip(NEXT) | instid1(VALU_DEP_4)
	v_fma_f64 v[0:1], -v[27:28], v[19:20], v[2:3]
	v_fma_f64 v[2:3], v[29:30], v[19:20], v[6:7]
	s_delay_alu instid0(VALU_DEP_4) | instskip(NEXT) | instid1(VALU_DEP_4)
	v_fma_f64 v[6:7], v[27:28], v[19:20], v[8:9]
	v_fma_f64 v[8:9], v[29:30], v[19:20], v[21:22]
	ds_store_b128 v164, v[0:3] offset:10368
	ds_store_b128 v14, v[6:9] offset:41472
	ds_load_b128 v[0:3], v164 offset:12096
	ds_load_b128 v[6:9], v14 offset:39744
	global_load_b128 v[19:22], v[23:24], off offset:3264
	s_waitcnt lgkmcnt(0)
	v_add_f64 v[23:24], v[0:1], v[6:7]
	v_add_f64 v[25:26], v[8:9], v[2:3]
	v_add_f64 v[27:28], v[0:1], -v[6:7]
	v_add_f64 v[0:1], v[2:3], -v[8:9]
	s_waitcnt vmcnt(2)
	s_delay_alu instid0(VALU_DEP_2) | instskip(NEXT) | instid1(VALU_DEP_2)
	v_fma_f64 v[2:3], v[27:28], v[17:18], v[23:24]
	v_fma_f64 v[6:7], v[25:26], v[17:18], v[0:1]
	v_fma_f64 v[8:9], -v[27:28], v[17:18], v[23:24]
	v_fma_f64 v[17:18], v[25:26], v[17:18], -v[0:1]
	v_add_co_u32 v23, s0, 0x4000, v4
	s_delay_alu instid0(VALU_DEP_1)
	v_add_co_ci_u32_e64 v24, s0, 0, v5, s0
	v_fma_f64 v[0:1], -v[25:26], v[15:16], v[2:3]
	v_fma_f64 v[2:3], v[27:28], v[15:16], v[6:7]
	v_fma_f64 v[6:7], v[25:26], v[15:16], v[8:9]
	;; [unrolled: 1-line block ×3, first 2 shown]
	ds_store_b128 v164, v[0:3] offset:12096
	ds_store_b128 v14, v[6:9] offset:39744
	ds_load_b128 v[0:3], v164 offset:13824
	ds_load_b128 v[6:9], v14 offset:38016
	global_load_b128 v[15:18], v[23:24], off offset:896
	s_waitcnt lgkmcnt(0)
	v_add_f64 v[25:26], v[0:1], v[6:7]
	v_add_f64 v[27:28], v[8:9], v[2:3]
	v_add_f64 v[29:30], v[0:1], -v[6:7]
	v_add_f64 v[0:1], v[2:3], -v[8:9]
	s_waitcnt vmcnt(2)
	s_delay_alu instid0(VALU_DEP_2) | instskip(NEXT) | instid1(VALU_DEP_2)
	v_fma_f64 v[2:3], v[29:30], v[12:13], v[25:26]
	v_fma_f64 v[6:7], v[27:28], v[12:13], v[0:1]
	v_fma_f64 v[8:9], -v[29:30], v[12:13], v[25:26]
	v_fma_f64 v[12:13], v[27:28], v[12:13], -v[0:1]
	s_delay_alu instid0(VALU_DEP_4) | instskip(NEXT) | instid1(VALU_DEP_4)
	v_fma_f64 v[0:1], -v[27:28], v[10:11], v[2:3]
	v_fma_f64 v[2:3], v[29:30], v[10:11], v[6:7]
	s_delay_alu instid0(VALU_DEP_4) | instskip(NEXT) | instid1(VALU_DEP_4)
	v_fma_f64 v[6:7], v[27:28], v[10:11], v[8:9]
	v_fma_f64 v[8:9], v[29:30], v[10:11], v[12:13]
	ds_store_b128 v164, v[0:3] offset:13824
	ds_store_b128 v14, v[6:9] offset:38016
	ds_load_b128 v[0:3], v164 offset:15552
	ds_load_b128 v[6:9], v14 offset:36288
	global_load_b128 v[10:13], v[23:24], off offset:2624
	s_waitcnt lgkmcnt(0)
	v_add_f64 v[23:24], v[0:1], v[6:7]
	v_add_f64 v[25:26], v[8:9], v[2:3]
	v_add_f64 v[27:28], v[0:1], -v[6:7]
	v_add_f64 v[0:1], v[2:3], -v[8:9]
	s_waitcnt vmcnt(2)
	s_delay_alu instid0(VALU_DEP_2) | instskip(NEXT) | instid1(VALU_DEP_2)
	v_fma_f64 v[2:3], v[27:28], v[21:22], v[23:24]
	v_fma_f64 v[6:7], v[25:26], v[21:22], v[0:1]
	v_fma_f64 v[8:9], -v[27:28], v[21:22], v[23:24]
	v_fma_f64 v[21:22], v[25:26], v[21:22], -v[0:1]
	v_add_co_u32 v23, s0, 0x5000, v4
	s_delay_alu instid0(VALU_DEP_1)
	v_add_co_ci_u32_e64 v24, s0, 0, v5, s0
	v_cmp_gt_u32_e64 s0, 0x5a, v152
	v_fma_f64 v[0:1], -v[25:26], v[19:20], v[2:3]
	v_fma_f64 v[2:3], v[27:28], v[19:20], v[6:7]
	v_fma_f64 v[6:7], v[25:26], v[19:20], v[8:9]
	;; [unrolled: 1-line block ×3, first 2 shown]
	ds_store_b128 v164, v[0:3] offset:15552
	ds_store_b128 v14, v[6:9] offset:36288
	ds_load_b128 v[0:3], v164 offset:17280
	ds_load_b128 v[6:9], v14 offset:34560
	global_load_b128 v[19:22], v[23:24], off offset:256
	s_waitcnt lgkmcnt(0)
	v_add_f64 v[4:5], v[0:1], v[6:7]
	v_add_f64 v[25:26], v[8:9], v[2:3]
	v_add_f64 v[6:7], v[0:1], -v[6:7]
	v_add_f64 v[0:1], v[2:3], -v[8:9]
	s_waitcnt vmcnt(2)
	s_delay_alu instid0(VALU_DEP_2) | instskip(NEXT) | instid1(VALU_DEP_2)
	v_fma_f64 v[2:3], v[6:7], v[17:18], v[4:5]
	v_fma_f64 v[8:9], v[25:26], v[17:18], v[0:1]
	v_fma_f64 v[4:5], -v[6:7], v[17:18], v[4:5]
	v_fma_f64 v[17:18], v[25:26], v[17:18], -v[0:1]
	s_delay_alu instid0(VALU_DEP_4) | instskip(NEXT) | instid1(VALU_DEP_4)
	v_fma_f64 v[0:1], -v[25:26], v[15:16], v[2:3]
	v_fma_f64 v[2:3], v[6:7], v[15:16], v[8:9]
	s_delay_alu instid0(VALU_DEP_4) | instskip(NEXT) | instid1(VALU_DEP_4)
	v_fma_f64 v[4:5], v[25:26], v[15:16], v[4:5]
	v_fma_f64 v[6:7], v[6:7], v[15:16], v[17:18]
	ds_store_b128 v164, v[0:3] offset:17280
	ds_store_b128 v14, v[4:7] offset:34560
	ds_load_b128 v[0:3], v164 offset:19008
	ds_load_b128 v[4:7], v14 offset:32832
	global_load_b128 v[15:18], v[23:24], off offset:1984
	s_waitcnt lgkmcnt(0)
	v_add_f64 v[8:9], v[0:1], v[4:5]
	v_add_f64 v[25:26], v[6:7], v[2:3]
	v_add_f64 v[27:28], v[0:1], -v[4:5]
	v_add_f64 v[0:1], v[2:3], -v[6:7]
	s_waitcnt vmcnt(2)
	s_delay_alu instid0(VALU_DEP_2) | instskip(NEXT) | instid1(VALU_DEP_2)
	v_fma_f64 v[2:3], v[27:28], v[12:13], v[8:9]
	v_fma_f64 v[4:5], v[25:26], v[12:13], v[0:1]
	v_fma_f64 v[6:7], -v[27:28], v[12:13], v[8:9]
	v_fma_f64 v[8:9], v[25:26], v[12:13], -v[0:1]
	s_delay_alu instid0(VALU_DEP_4) | instskip(NEXT) | instid1(VALU_DEP_4)
	v_fma_f64 v[0:1], -v[25:26], v[10:11], v[2:3]
	v_fma_f64 v[2:3], v[27:28], v[10:11], v[4:5]
	s_delay_alu instid0(VALU_DEP_4) | instskip(NEXT) | instid1(VALU_DEP_4)
	v_fma_f64 v[4:5], v[25:26], v[10:11], v[6:7]
	v_fma_f64 v[6:7], v[27:28], v[10:11], v[8:9]
	;; [unrolled: 22-line block ×3, first 2 shown]
	ds_store_b128 v164, v[4:7] offset:20736
	ds_store_b128 v14, v[8:11] offset:31104
	ds_load_b128 v[4:7], v164 offset:22464
	ds_load_b128 v[8:11], v14 offset:29376
	s_waitcnt lgkmcnt(0)
	v_add_f64 v[12:13], v[4:5], v[8:9]
	v_add_f64 v[19:20], v[10:11], v[6:7]
	v_add_f64 v[21:22], v[4:5], -v[8:9]
	v_add_f64 v[4:5], v[6:7], -v[10:11]
	s_waitcnt vmcnt(1)
	s_delay_alu instid0(VALU_DEP_2) | instskip(NEXT) | instid1(VALU_DEP_2)
	v_fma_f64 v[6:7], v[21:22], v[17:18], v[12:13]
	v_fma_f64 v[8:9], v[19:20], v[17:18], v[4:5]
	v_fma_f64 v[10:11], -v[21:22], v[17:18], v[12:13]
	v_fma_f64 v[12:13], v[19:20], v[17:18], -v[4:5]
	s_delay_alu instid0(VALU_DEP_4) | instskip(NEXT) | instid1(VALU_DEP_4)
	v_fma_f64 v[4:5], -v[19:20], v[15:16], v[6:7]
	v_fma_f64 v[6:7], v[21:22], v[15:16], v[8:9]
	s_delay_alu instid0(VALU_DEP_4) | instskip(NEXT) | instid1(VALU_DEP_4)
	v_fma_f64 v[8:9], v[19:20], v[15:16], v[10:11]
	v_fma_f64 v[10:11], v[21:22], v[15:16], v[12:13]
	ds_store_b128 v164, v[4:7] offset:22464
	ds_store_b128 v14, v[8:11] offset:29376
	ds_load_b128 v[6:9], v164 offset:24192
	ds_load_b128 v[10:13], v14 offset:27648
	v_mul_u32_u24_e32 v19, 0xaaab, v124
	s_delay_alu instid0(VALU_DEP_1) | instskip(NEXT) | instid1(VALU_DEP_1)
	v_lshrrev_b32_e32 v84, 17, v19
	v_mul_lo_u16 v251, v84, 3
	s_waitcnt lgkmcnt(0)
	v_add_f64 v[15:16], v[6:7], v[10:11]
	v_add_f64 v[4:5], v[12:13], v[8:9]
	v_add_f64 v[6:7], v[6:7], -v[10:11]
	v_add_f64 v[17:18], v[8:9], -v[12:13]
	s_waitcnt vmcnt(0)
	s_delay_alu instid0(VALU_DEP_2) | instskip(NEXT) | instid1(VALU_DEP_2)
	v_fma_f64 v[8:9], v[6:7], v[2:3], v[15:16]
	v_fma_f64 v[10:11], v[4:5], v[2:3], v[17:18]
	v_fma_f64 v[12:13], -v[6:7], v[2:3], v[15:16]
	v_fma_f64 v[2:3], v[4:5], v[2:3], -v[17:18]
	v_add_nc_u32_e32 v16, 0x21c, v152
	v_mul_lo_u16 v17, 0xab, v80
	v_mul_u32_u24_e32 v18, 0xaaab, v125
	v_mad_u32_u24 v15, v152, 48, 0
	v_mul_lo_u16 v80, v80, 57
	s_delay_alu instid0(VALU_DEP_4)
	v_lshrrev_b16 v83, 9, v17
	v_mul_u32_u24_e32 v17, 0xaaab, v126
	v_lshrrev_b32_e32 v91, 17, v18
	v_add_nc_u32_e32 v239, 0x6548, v15
	v_add_nc_u32_e32 v240, 0x6558, v15
	v_mul_lo_u16 v20, v83, 3
	v_lshrrev_b32_e32 v90, 17, v17
	v_add_nc_u32_e32 v241, 0x7988, v15
	v_add_nc_u32_e32 v242, 0x7998, v15
	;; [unrolled: 1-line block ×8, first 2 shown]
	v_mul_lo_u16 v249, v90, 3
	v_mul_lo_u16 v250, v91, 3
	v_mul_u32_u24_e32 v90, 0x90, v90
	v_mul_u32_u24_e32 v91, 0x90, v91
	v_fma_f64 v[8:9], -v[4:5], v[0:1], v[8:9]
	v_fma_f64 v[10:11], v[6:7], v[0:1], v[10:11]
	v_fma_f64 v[4:5], v[4:5], v[0:1], v[12:13]
	v_fma_f64 v[6:7], v[6:7], v[0:1], v[2:3]
	v_and_b32_e32 v0, 0xffff, v16
	v_and_b32_e32 v1, 0xffff, v79
	v_mul_lo_u16 v13, 0xab, v127
	v_and_b32_e32 v2, 0xffff, v153
	v_and_b32_e32 v3, 0xffff, v237
	v_mul_u32_u24_e32 v0, 0xaaab, v0
	v_mul_u32_u24_e32 v1, 0xaaab, v1
	v_lshrrev_b16 v89, 9, v13
	v_and_b32_e32 v12, 0xffff, v238
	v_mul_u32_u24_e32 v2, 0xaaab, v2
	v_mul_u32_u24_e32 v3, 0xaaab, v3
	v_lshrrev_b32_e32 v85, 17, v0
	v_lshrrev_b32_e32 v86, 17, v1
	v_sub_nc_u16 v0, v152, v20
	v_mul_lo_u16 v1, v89, 3
	v_mul_u32_u24_e32 v12, 0xaaab, v12
	v_lshrrev_b32_e32 v87, 17, v2
	v_lshrrev_b32_e32 v81, 17, v3
	v_and_b32_e32 v88, 0xff, v0
	v_sub_nc_u16 v255, v122, v1
	ds_store_b128 v164, v[8:11] offset:24192
	ds_store_b128 v14, v[4:7] offset:27648
	s_waitcnt lgkmcnt(0)
	s_barrier
	buffer_gl0_inv
	s_barrier
	buffer_gl0_inv
	ds_load_b128 v[0:3], v164 offset:1728
	ds_load_b128 v[4:7], v164 offset:3456
	ds_load_b128 v[8:11], v164 offset:19008
	ds_load_b128 v[17:20], v164 offset:20736
	ds_load_b128 v[21:24], v164 offset:17280
	ds_load_b128 v[25:28], v164 offset:15552
	ds_load_b128 v[29:32], v164
	ds_load_b128 v[33:36], v164 offset:50112
	ds_load_b128 v[37:40], v164 offset:36288
	;; [unrolled: 1-line block ×23, first 2 shown]
	v_lshrrev_b32_e32 v82, 17, v12
	s_waitcnt lgkmcnt(23)
	v_add_f64 v[12:13], v[29:30], v[21:22]
	v_add_f64 v[77:78], v[31:32], v[23:24]
	;; [unrolled: 1-line block ×3, first 2 shown]
	s_waitcnt lgkmcnt(15)
	v_add_f64 v[160:161], v[21:22], v[61:62]
	v_add_f64 v[162:163], v[23:24], -v[63:64]
	v_add_f64 v[23:24], v[23:24], v[63:64]
	v_add_f64 v[150:151], v[2:3], v[10:11]
	v_add_f64 v[165:166], v[21:22], -v[61:62]
	v_add_f64 v[21:22], v[8:9], v[37:38]
	v_add_f64 v[173:174], v[10:11], v[39:40]
	v_add_f64 v[158:159], v[6:7], v[19:20]
	v_add_f64 v[177:178], v[17:18], v[41:42]
	v_add_f64 v[181:182], v[19:20], v[43:44]
	v_add_f64 v[169:170], v[47:48], v[55:56]
	s_waitcnt lgkmcnt(13)
	v_add_f64 v[185:186], v[53:54], v[69:70]
	v_add_f64 v[187:188], v[55:56], -v[71:72]
	v_add_f64 v[55:56], v[55:56], v[71:72]
	v_add_f64 v[167:168], v[45:46], v[53:54]
	s_waitcnt lgkmcnt(12)
	v_add_f64 v[193:194], v[57:58], v[73:74]
	v_add_f64 v[195:196], v[59:60], v[75:76]
	s_waitcnt lgkmcnt(7)
	;; [unrolled: 3-line block ×3, first 2 shown]
	v_add_f64 v[209:210], v[104:105], v[112:113]
	v_add_f64 v[211:212], v[106:107], v[114:115]
	v_add_f64 v[189:190], v[53:54], -v[69:70]
	v_add_f64 v[53:54], v[49:50], v[57:58]
	v_add_f64 v[197:198], v[57:58], -v[73:74]
	v_add_f64 v[57:58], v[92:93], v[100:101]
	v_add_f64 v[207:208], v[98:99], v[106:107]
	s_waitcnt lgkmcnt(1)
	v_add_f64 v[217:218], v[132:133], v[140:141]
	v_add_f64 v[219:220], v[134:135], v[142:143]
	s_waitcnt lgkmcnt(0)
	v_add_f64 v[225:226], v[136:137], v[144:145]
	v_add_f64 v[227:228], v[138:139], v[146:147]
	v_add_f64 v[191:192], v[51:52], v[59:60]
	v_add_f64 v[199:200], v[94:95], v[102:103]
	v_add_f64 v[213:214], v[116:117], v[132:133]
	v_add_f64 v[223:224], v[130:131], v[138:139]
	v_add_f64 v[233:234], v[65:66], v[33:34]
	v_add_f64 v[235:236], v[67:68], v[35:36]
	v_add_f64 v[175:176], v[8:9], -v[37:38]
	v_add_f64 v[8:9], v[12:13], v[61:62]
	v_fma_f64 v[12:13], v[160:161], -0.5, v[29:30]
	v_add_f64 v[156:157], v[4:5], v[17:18]
	v_fma_f64 v[31:32], v[23:24], -0.5, v[31:32]
	v_add_f64 v[171:172], v[10:11], -v[39:40]
	v_add_f64 v[179:180], v[19:20], -v[43:44]
	;; [unrolled: 1-line block ×3, first 2 shown]
	v_add_f64 v[205:206], v[96:97], v[104:105]
	v_add_f64 v[215:216], v[118:119], v[134:135]
	;; [unrolled: 1-line block ×7, first 2 shown]
	v_fma_f64 v[37:38], v[21:22], -0.5, v[0:1]
	v_fma_f64 v[39:40], v[173:174], -0.5, v[2:3]
	v_add_f64 v[2:3], v[158:159], v[43:44]
	v_fma_f64 v[43:44], v[177:178], -0.5, v[4:5]
	v_fma_f64 v[61:62], v[181:182], -0.5, v[6:7]
	v_add_f64 v[10:11], v[77:78], v[63:64]
	v_fma_f64 v[63:64], v[185:186], -0.5, v[45:46]
	v_fma_f64 v[55:56], v[55:56], -0.5, v[47:48]
	v_add_f64 v[59:60], v[59:60], -v[75:76]
	v_add_f64 v[4:5], v[167:168], v[69:70]
	v_add_f64 v[6:7], v[169:170], v[71:72]
	v_fma_f64 v[69:70], v[193:194], -0.5, v[49:50]
	v_fma_f64 v[71:72], v[195:196], -0.5, v[51:52]
	v_add_f64 v[102:103], v[102:103], -v[110:111]
	v_fma_f64 v[77:78], v[201:202], -0.5, v[92:93]
	v_add_f64 v[100:101], v[100:101], -v[108:109]
	;; [unrolled: 2-line block ×5, first 2 shown]
	v_add_f64 v[21:22], v[53:54], v[73:74]
	v_add_f64 v[73:74], v[57:58], v[108:109]
	;; [unrolled: 1-line block ×3, first 2 shown]
	v_fma_f64 v[114:115], v[217:218], -0.5, v[116:117]
	v_add_f64 v[132:133], v[132:133], -v[140:141]
	v_fma_f64 v[116:117], v[219:220], -0.5, v[118:119]
	v_add_f64 v[138:139], v[138:139], -v[146:147]
	;; [unrolled: 2-line block ×4, first 2 shown]
	v_add_f64 v[23:24], v[191:192], v[75:76]
	v_add_f64 v[75:76], v[199:200], v[110:111]
	;; [unrolled: 1-line block ×4, first 2 shown]
	v_fma_f64 v[146:147], v[233:234], -0.5, v[25:26]
	v_add_f64 v[65:66], v[65:66], -v[33:34]
	v_fma_f64 v[148:149], v[235:236], -0.5, v[27:28]
	v_fma_f64 v[25:26], v[162:163], s[6:7], v[12:13]
	v_fma_f64 v[27:28], v[165:166], s[2:3], v[31:32]
	;; [unrolled: 1-line block ×4, first 2 shown]
	v_add_f64 v[94:95], v[205:206], v[112:113]
	v_add_f64 v[112:113], v[215:216], v[142:143]
	;; [unrolled: 1-line block ×5, first 2 shown]
	v_fma_f64 v[33:34], v[171:172], s[6:7], v[37:38]
	v_fma_f64 v[35:36], v[175:176], s[2:3], v[39:40]
	v_fma_f64 v[37:38], v[171:172], s[2:3], v[37:38]
	v_fma_f64 v[39:40], v[175:176], s[6:7], v[39:40]
	v_add_f64 v[0:1], v[156:157], v[41:42]
	v_fma_f64 v[41:42], v[179:180], s[6:7], v[43:44]
	v_fma_f64 v[45:46], v[179:180], s[2:3], v[43:44]
	;; [unrolled: 1-line block ×32, first 2 shown]
	s_barrier
	buffer_gl0_inv
	ds_store_b128 v15, v[8:11]
	ds_store_b128 v15, v[25:28] offset:16
	ds_store_b128 v15, v[29:32] offset:32
	;; [unrolled: 1-line block ×14, first 2 shown]
	ds_store_b64 v15, v[73:74] offset:25920
	ds_store_2addr_b64 v239, v[75:76], v[12:13] offset1:1
	ds_store_2addr_b64 v240, v[71:72], v[69:70] offset1:1
	ds_store_b64 v15, v[77:78] offset:25960
	ds_store_b64 v15, v[94:95] offset:31104
	ds_store_2addr_b64 v241, v[108:109], v[92:93] offset1:1
	ds_store_2addr_b64 v242, v[100:101], v[96:97] offset1:1
	ds_store_b64 v15, v[98:99] offset:31144
	;; [unrolled: 4-line block ×5, first 2 shown]
	v_and_b32_e32 v92, 0xff, v255
	v_lshlrev_b32_e32 v154, 5, v88
	s_waitcnt lgkmcnt(0)
	s_barrier
	buffer_gl0_inv
	v_lshlrev_b32_e32 v3, 5, v92
	s_clause 0x1
	global_load_b128 v[56:59], v154, s[4:5]
	global_load_b128 v[64:67], v154, s[4:5] offset:16
	v_sub_nc_u16 v1, v120, v249
	v_mul_lo_u16 v253, v86, 3
	global_load_b128 v[72:75], v3, s[4:5]
	v_sub_nc_u16 v2, v121, v250
	v_mul_lo_u16 v252, v85, 3
	v_and_b32_e32 v93, 0xffff, v1
	v_sub_nc_u16 v4, v123, v251
	v_sub_nc_u16 v1, v79, v253
	v_mul_lo_u16 v0, v81, 3
	v_and_b32_e32 v94, 0xffff, v2
	v_sub_nc_u16 v5, v16, v252
	v_mul_lo_u16 v254, v87, 3
	v_lshlrev_b32_e32 v2, 5, v93
	v_and_b32_e32 v95, 0xffff, v4
	v_and_b32_e32 v97, 0xffff, v1
	global_load_b128 v[68:71], v3, s[4:5] offset:16
	v_sub_nc_u16 v16, v237, v0
	v_lshlrev_b32_e32 v0, 5, v94
	v_and_b32_e32 v96, 0xffff, v5
	v_sub_nc_u16 v8, v153, v254
	s_clause 0x1
	global_load_b128 v[60:63], v2, s[4:5]
	global_load_b128 v[48:51], v2, s[4:5] offset:16
	v_mul_lo_u16 v12, v82, 3
	v_lshlrev_b32_e32 v2, 5, v95
	v_lshlrev_b32_e32 v17, 5, v97
	s_clause 0x1
	global_load_b128 v[44:47], v0, s[4:5]
	global_load_b128 v[28:31], v0, s[4:5] offset:16
	v_lshlrev_b32_e32 v13, 5, v96
	v_and_b32_e32 v98, 0xffff, v8
	global_load_b128 v[4:7], v2, s[4:5]
	v_sub_nc_u16 v24, v238, v12
	s_clause 0x2
	global_load_b128 v[20:23], v17, s[4:5]
	global_load_b128 v[0:3], v2, s[4:5] offset:16
	global_load_b128 v[8:11], v13, s[4:5]
	v_and_b32_e32 v99, 0xffff, v16
	s_clause 0x1
	global_load_b128 v[12:15], v13, s[4:5] offset:16
	global_load_b128 v[16:19], v17, s[4:5] offset:16
	v_lshlrev_b32_e32 v25, 5, v98
	v_and_b32_e32 v100, 0xffff, v24
	v_lshlrev_b32_e32 v40, 5, v99
	v_lshrrev_b16 v129, 9, v80
	v_and_b32_e32 v80, 0xffff, v83
	s_clause 0x2
	global_load_b128 v[36:39], v25, s[4:5]
	global_load_b128 v[32:35], v25, s[4:5] offset:16
	global_load_b128 v[24:27], v40, s[4:5]
	v_lshlrev_b32_e32 v76, 5, v100
	s_clause 0x2
	global_load_b128 v[40:43], v40, s[4:5] offset:16
	global_load_b128 v[52:55], v76, s[4:5]
	global_load_b128 v[76:79], v76, s[4:5] offset:16
	v_mul_lo_u16 v83, v129, 9
	v_mul_u32_u24_e32 v80, 0x90, v80
	v_and_b32_e32 v89, 0xffff, v89
	v_mul_u32_u24_e32 v101, 0x90, v84
	v_mul_u32_u24_e32 v155, 0x90, v81
	v_sub_nc_u16 v83, v152, v83
	v_mul_u32_u24_e32 v239, 0x90, v82
	v_mul_u32_u24_e32 v119, 0x90, v85
	;; [unrolled: 1-line block ×4, first 2 shown]
	v_and_b32_e32 v128, 0xff, v83
	v_lshlrev_b32_e32 v83, 4, v88
	ds_load_b128 v[85:88], v164 offset:34560
	v_mul_u32_u24_e32 v89, 0x90, v89
	v_lshlrev_b32_e32 v92, 4, v92
	v_mul_u32_u24_e32 v102, 9, v128
	v_add3_u32 v240, 0, v80, v83
	ds_load_b128 v[81:84], v164 offset:17280
	v_lshlrev_b32_e32 v93, 4, v93
	v_lshlrev_b32_e32 v94, 4, v94
	;; [unrolled: 1-line block ×9, first 2 shown]
	v_add3_u32 v246, 0, v89, v92
	v_add3_u32 v247, 0, v90, v93
	;; [unrolled: 1-line block ×4, first 2 shown]
	ds_load_b128 v[89:92], v164 offset:19008
	ds_load_b128 v[93:96], v164 offset:15552
	ds_load_b128 v[97:100], v164 offset:32832
	ds_load_b128 v[101:104], v164 offset:20736
	ds_load_b128 v[105:108], v164 offset:36288
	ds_load_b128 v[109:112], v164 offset:38016
	ds_load_b128 v[113:116], v164 offset:22464
	ds_load_b128 v[130:133], v164 offset:24192
	ds_load_b128 v[134:137], v164 offset:39744
	ds_load_b128 v[138:141], v164 offset:41472
	ds_load_b128 v[142:145], v164 offset:25920
	ds_load_b128 v[146:149], v164 offset:27648
	ds_load_b128 v[156:159], v164 offset:43200
	ds_load_b128 v[160:163], v164 offset:44928
	ds_load_b128 v[165:168], v164 offset:29376
	ds_load_b128 v[169:172], v164 offset:31104
	ds_load_b128 v[173:176], v164 offset:46656
	ds_load_b128 v[177:180], v164 offset:48384
	ds_load_b128 v[181:184], v164 offset:50112
	ds_load_b128 v[185:188], v164
	v_and_b32_e32 v129, 0xffff, v129
	s_waitcnt vmcnt(19) lgkmcnt(20)
	v_mul_f64 v[117:118], v[83:84], v[58:59]
	s_waitcnt vmcnt(18)
	v_mul_f64 v[150:151], v[87:88], v[66:67]
	v_mul_f64 v[58:59], v[81:82], v[58:59]
	;; [unrolled: 1-line block ×3, first 2 shown]
	s_waitcnt vmcnt(17) lgkmcnt(19)
	v_mul_f64 v[189:190], v[91:92], v[74:75]
	v_mul_f64 v[74:75], v[89:90], v[74:75]
	s_waitcnt vmcnt(16) lgkmcnt(15)
	v_mul_f64 v[191:192], v[107:108], v[70:71]
	v_mul_f64 v[70:71], v[105:106], v[70:71]
	s_waitcnt vmcnt(15)
	v_mul_f64 v[193:194], v[103:104], v[62:63]
	v_mul_f64 v[62:63], v[101:102], v[62:63]
	s_waitcnt vmcnt(14) lgkmcnt(14)
	v_mul_f64 v[195:196], v[111:112], v[50:51]
	v_mul_f64 v[50:51], v[109:110], v[50:51]
	s_waitcnt vmcnt(13) lgkmcnt(13)
	;; [unrolled: 3-line block ×3, first 2 shown]
	v_mul_f64 v[201:202], v[136:137], v[30:31]
	v_mul_f64 v[30:31], v[134:135], v[30:31]
	s_waitcnt vmcnt(11)
	v_mul_f64 v[203:204], v[132:133], v[6:7]
	v_mul_f64 v[6:7], v[130:131], v[6:7]
	s_waitcnt vmcnt(10) lgkmcnt(8)
	v_mul_f64 v[211:212], v[148:149], v[22:23]
	s_waitcnt vmcnt(9)
	v_mul_f64 v[205:206], v[140:141], v[2:3]
	v_mul_f64 v[2:3], v[138:139], v[2:3]
	s_waitcnt vmcnt(8)
	v_mul_f64 v[207:208], v[144:145], v[10:11]
	v_mul_f64 v[10:11], v[142:143], v[10:11]
	s_waitcnt vmcnt(7) lgkmcnt(7)
	v_mul_f64 v[209:210], v[158:159], v[14:15]
	v_mul_f64 v[14:15], v[156:157], v[14:15]
	;; [unrolled: 1-line block ×3, first 2 shown]
	s_waitcnt vmcnt(6) lgkmcnt(6)
	v_mul_f64 v[213:214], v[162:163], v[18:19]
	v_mul_f64 v[18:19], v[160:161], v[18:19]
	v_fma_f64 v[81:82], v[81:82], v[56:57], -v[117:118]
	s_waitcnt vmcnt(5) lgkmcnt(5)
	v_mul_f64 v[117:118], v[167:168], v[38:39]
	v_mul_f64 v[38:39], v[165:166], v[38:39]
	s_waitcnt vmcnt(4) lgkmcnt(3)
	v_mul_f64 v[215:216], v[175:176], v[34:35]
	v_mul_f64 v[34:35], v[173:174], v[34:35]
	v_fma_f64 v[85:86], v[85:86], v[64:65], -v[150:151]
	s_waitcnt vmcnt(3)
	v_mul_f64 v[150:151], v[171:172], v[26:27]
	v_mul_f64 v[217:218], v[169:170], v[26:27]
	s_waitcnt vmcnt(2) lgkmcnt(2)
	v_mul_f64 v[219:220], v[179:180], v[42:43]
	v_fma_f64 v[74:75], v[91:92], v[72:73], v[74:75]
	v_mul_f64 v[91:92], v[177:178], v[42:43]
	v_fma_f64 v[89:90], v[89:90], v[72:73], -v[189:190]
	s_waitcnt vmcnt(1)
	v_mul_f64 v[189:190], v[99:100], v[54:55]
	v_mul_f64 v[221:222], v[97:98], v[54:55]
	s_waitcnt vmcnt(0) lgkmcnt(1)
	v_mul_f64 v[223:224], v[183:184], v[78:79]
	v_mul_f64 v[78:79], v[181:182], v[78:79]
	v_fma_f64 v[83:84], v[83:84], v[56:57], v[58:59]
	v_fma_f64 v[87:88], v[87:88], v[64:65], v[66:67]
	v_fma_f64 v[105:106], v[105:106], v[68:69], -v[191:192]
	v_fma_f64 v[107:108], v[107:108], v[68:69], v[70:71]
	v_fma_f64 v[101:102], v[101:102], v[60:61], -v[193:194]
	v_fma_f64 v[103:104], v[103:104], v[60:61], v[62:63]
	v_fma_f64 v[109:110], v[109:110], v[48:49], -v[195:196]
	v_fma_f64 v[50:51], v[111:112], v[48:49], v[50:51]
	v_fma_f64 v[111:112], v[113:114], v[44:45], -v[197:198]
	v_fma_f64 v[113:114], v[115:116], v[44:45], v[199:200]
	v_fma_f64 v[115:116], v[134:135], v[28:29], -v[201:202]
	v_fma_f64 v[30:31], v[136:137], v[28:29], v[30:31]
	v_fma_f64 v[130:131], v[130:131], v[4:5], -v[203:204]
	v_fma_f64 v[4:5], v[132:133], v[4:5], v[6:7]
	v_fma_f64 v[132:133], v[138:139], v[0:1], -v[205:206]
	v_fma_f64 v[134:135], v[140:141], v[0:1], v[2:3]
	v_fma_f64 v[0:1], v[142:143], v[8:9], -v[207:208]
	v_fma_f64 v[2:3], v[144:145], v[8:9], v[10:11]
	v_fma_f64 v[136:137], v[156:157], v[12:13], -v[209:210]
	v_fma_f64 v[138:139], v[158:159], v[12:13], v[14:15]
	v_fma_f64 v[6:7], v[146:147], v[20:21], -v[211:212]
	v_fma_f64 v[8:9], v[148:149], v[20:21], v[22:23]
	v_fma_f64 v[140:141], v[160:161], v[16:17], -v[213:214]
	v_fma_f64 v[142:143], v[162:163], v[16:17], v[18:19]
	v_fma_f64 v[10:11], v[165:166], v[36:37], -v[117:118]
	v_fma_f64 v[12:13], v[167:168], v[36:37], v[38:39]
	v_fma_f64 v[36:37], v[173:174], v[32:33], -v[215:216]
	v_fma_f64 v[34:35], v[175:176], v[32:33], v[34:35]
	v_fma_f64 v[14:15], v[169:170], v[24:25], -v[150:151]
	v_fma_f64 v[16:17], v[171:172], v[24:25], v[217:218]
	v_fma_f64 v[38:39], v[177:178], v[40:41], -v[219:220]
	ds_load_b128 v[54:57], v164 offset:1728
	ds_load_b128 v[58:61], v164 offset:3456
	v_fma_f64 v[40:41], v[179:180], v[40:41], v[91:92]
	ds_load_b128 v[46:49], v164 offset:5184
	ds_load_b128 v[62:65], v164 offset:6912
	v_fma_f64 v[18:19], v[97:98], v[52:53], -v[189:190]
	v_fma_f64 v[20:21], v[99:100], v[52:53], v[221:222]
	v_fma_f64 v[52:53], v[181:182], v[76:77], -v[223:224]
	v_fma_f64 v[76:77], v[183:184], v[76:77], v[78:79]
	v_add_f64 v[22:23], v[81:82], v[85:86]
	v_add_f64 v[24:25], v[83:84], v[87:88]
	;; [unrolled: 1-line block ×4, first 2 shown]
	s_waitcnt lgkmcnt(4)
	v_add_f64 v[78:79], v[185:186], v[81:82]
	ds_load_b128 v[42:45], v164 offset:8640
	ds_load_b128 v[66:69], v164 offset:10368
	v_add_f64 v[144:145], v[101:102], v[109:110]
	v_add_f64 v[146:147], v[103:104], v[50:51]
	;; [unrolled: 1-line block ×3, first 2 shown]
	ds_load_b128 v[26:29], v164 offset:12096
	ds_load_b128 v[70:73], v164 offset:13824
	v_add_f64 v[156:157], v[111:112], v[115:116]
	v_add_f64 v[158:159], v[113:114], v[30:31]
	s_waitcnt lgkmcnt(7)
	v_add_f64 v[99:100], v[56:57], v[74:75]
	v_add_f64 v[117:118], v[54:55], v[89:90]
	;; [unrolled: 1-line block ×4, first 2 shown]
	s_waitcnt lgkmcnt(6)
	v_add_f64 v[150:151], v[58:59], v[101:102]
	s_waitcnt lgkmcnt(5)
	v_add_f64 v[162:163], v[46:47], v[111:112]
	v_add_f64 v[175:176], v[0:1], v[136:137]
	;; [unrolled: 1-line block ×3, first 2 shown]
	s_waitcnt lgkmcnt(4)
	v_add_f64 v[169:170], v[64:65], v[4:5]
	v_add_f64 v[171:172], v[62:63], v[130:131]
	;; [unrolled: 1-line block ×4, first 2 shown]
	s_waitcnt lgkmcnt(3)
	v_add_f64 v[179:180], v[44:45], v[2:3]
	v_add_f64 v[181:182], v[42:43], v[0:1]
	;; [unrolled: 1-line block ×4, first 2 shown]
	v_add_f64 v[83:84], v[83:84], -v[87:88]
	v_add_f64 v[81:82], v[81:82], -v[85:86]
	v_add_f64 v[215:216], v[14:15], v[38:39]
	v_add_f64 v[74:75], v[74:75], -v[107:108]
	v_add_f64 v[217:218], v[16:17], v[40:41]
	v_add_f64 v[89:90], v[89:90], -v[105:106]
	v_add_f64 v[148:149], v[60:61], v[103:104]
	s_waitcnt lgkmcnt(1)
	v_add_f64 v[207:208], v[28:29], v[12:13]
	v_add_f64 v[227:228], v[18:19], v[52:53]
	;; [unrolled: 1-line block ×3, first 2 shown]
	v_fma_f64 v[185:186], v[22:23], -0.5, v[185:186]
	v_fma_f64 v[187:188], v[24:25], -0.5, v[187:188]
	s_waitcnt lgkmcnt(0)
	v_add_f64 v[221:222], v[70:71], v[14:15]
	v_add_f64 v[233:234], v[93:94], v[18:19]
	v_fma_f64 v[54:55], v[91:92], -0.5, v[54:55]
	v_fma_f64 v[56:57], v[97:98], -0.5, v[56:57]
	v_add_f64 v[103:104], v[103:104], -v[50:51]
	v_add_f64 v[101:102], v[101:102], -v[109:110]
	;; [unrolled: 1-line block ×3, first 2 shown]
	v_add_f64 v[0:1], v[78:79], v[85:86]
	v_fma_f64 v[78:79], v[144:145], -0.5, v[58:59]
	v_fma_f64 v[85:86], v[146:147], -0.5, v[60:61]
	v_add_f64 v[160:161], v[48:49], v[113:114]
	v_add_f64 v[113:114], v[113:114], -v[30:31]
	v_add_f64 v[111:112], v[111:112], -v[115:116]
	;; [unrolled: 1-line block ×3, first 2 shown]
	v_add_f64 v[2:3], v[32:33], v[87:88]
	v_fma_f64 v[87:88], v[156:157], -0.5, v[46:47]
	v_fma_f64 v[91:92], v[158:159], -0.5, v[48:49]
	v_add_f64 v[173:174], v[4:5], -v[134:135]
	v_add_f64 v[130:131], v[130:131], -v[132:133]
	v_add_f64 v[197:198], v[66:67], v[6:7]
	v_add_f64 v[201:202], v[6:7], -v[140:141]
	v_add_f64 v[209:210], v[26:27], v[10:11]
	v_add_f64 v[219:220], v[72:73], v[16:17]
	;; [unrolled: 1-line block ×4, first 2 shown]
	v_fma_f64 v[97:98], v[165:166], -0.5, v[62:63]
	v_fma_f64 v[99:100], v[167:168], -0.5, v[64:65]
	v_add_f64 v[4:5], v[117:118], v[105:106]
	v_fma_f64 v[105:106], v[175:176], -0.5, v[42:43]
	v_fma_f64 v[107:108], v[177:178], -0.5, v[44:45]
	v_add_f64 v[195:196], v[68:69], v[8:9]
	v_add_f64 v[199:200], v[8:9], -v[142:143]
	v_add_f64 v[211:212], v[12:13], -v[34:35]
	v_add_f64 v[8:9], v[150:151], v[109:110]
	v_add_f64 v[12:13], v[162:163], v[115:116]
	v_fma_f64 v[109:110], v[191:192], -0.5, v[66:67]
	v_fma_f64 v[115:116], v[193:194], -0.5, v[68:69]
	v_add_f64 v[213:214], v[10:11], -v[36:37]
	v_fma_f64 v[117:118], v[203:204], -0.5, v[26:27]
	v_fma_f64 v[28:29], v[205:206], -0.5, v[28:29]
	v_add_f64 v[223:224], v[16:17], -v[40:41]
	v_add_f64 v[225:226], v[14:15], -v[38:39]
	;; [unrolled: 1-line block ×3, first 2 shown]
	v_add_f64 v[18:19], v[169:170], v[134:135]
	v_add_f64 v[16:17], v[171:172], v[132:133]
	v_fma_f64 v[132:133], v[215:216], -0.5, v[70:71]
	v_fma_f64 v[134:135], v[217:218], -0.5, v[72:73]
	v_add_f64 v[235:236], v[20:21], -v[76:77]
	v_add_f64 v[22:23], v[179:180], v[138:139]
	v_add_f64 v[20:21], v[181:182], v[136:137]
	v_fma_f64 v[136:137], v[227:228], -0.5, v[93:94]
	v_fma_f64 v[138:139], v[229:230], -0.5, v[95:96]
	v_fma_f64 v[42:43], v[83:84], s[6:7], v[185:186]
	v_fma_f64 v[44:45], v[81:82], s[2:3], v[187:188]
	;; [unrolled: 1-line block ×4, first 2 shown]
	v_add_f64 v[10:11], v[148:149], v[50:51]
	v_add_f64 v[26:27], v[207:208], v[34:35]
	;; [unrolled: 1-line block ×4, first 2 shown]
	v_fma_f64 v[50:51], v[74:75], s[6:7], v[54:55]
	v_fma_f64 v[52:53], v[89:90], s[2:3], v[56:57]
	;; [unrolled: 1-line block ×8, first 2 shown]
	v_add_f64 v[14:15], v[160:161], v[30:31]
	v_fma_f64 v[66:67], v[113:114], s[6:7], v[87:88]
	v_fma_f64 v[68:69], v[111:112], s[2:3], v[91:92]
	;; [unrolled: 1-line block ×4, first 2 shown]
	v_add_f64 v[24:25], v[209:210], v[36:37]
	v_add_f64 v[36:37], v[219:220], v[40:41]
	;; [unrolled: 1-line block ×3, first 2 shown]
	v_fma_f64 v[74:75], v[173:174], s[6:7], v[97:98]
	v_fma_f64 v[76:77], v[130:131], s[2:3], v[99:100]
	v_fma_f64 v[81:82], v[173:174], s[2:3], v[97:98]
	v_fma_f64 v[83:84], v[130:131], s[6:7], v[99:100]
	v_fma_f64 v[85:86], v[183:184], s[6:7], v[105:106]
	v_fma_f64 v[87:88], v[189:190], s[2:3], v[107:108]
	v_fma_f64 v[89:90], v[183:184], s[2:3], v[105:106]
	v_fma_f64 v[91:92], v[189:190], s[6:7], v[107:108]
	v_add_f64 v[32:33], v[195:196], v[142:143]
	v_add_f64 v[30:31], v[197:198], v[140:141]
	v_fma_f64 v[93:94], v[199:200], s[6:7], v[109:110]
	v_fma_f64 v[95:96], v[201:202], s[2:3], v[115:116]
	v_fma_f64 v[97:98], v[199:200], s[2:3], v[109:110]
	v_fma_f64 v[99:100], v[201:202], s[6:7], v[115:116]
	v_fma_f64 v[101:102], v[211:212], s[6:7], v[117:118]
	v_fma_f64 v[103:104], v[213:214], s[2:3], v[28:29]
	v_fma_f64 v[105:106], v[211:212], s[2:3], v[117:118]
	v_fma_f64 v[107:108], v[213:214], s[6:7], v[28:29]
	v_fma_f64 v[109:110], v[223:224], s[6:7], v[132:133]
	v_fma_f64 v[111:112], v[225:226], s[2:3], v[134:135]
	v_fma_f64 v[113:114], v[223:224], s[2:3], v[132:133]
	v_fma_f64 v[115:116], v[225:226], s[6:7], v[134:135]
	v_fma_f64 v[130:131], v[235:236], s[6:7], v[136:137]
	v_fma_f64 v[132:133], v[237:238], s[2:3], v[138:139]
	v_fma_f64 v[134:135], v[235:236], s[2:3], v[136:137]
	v_fma_f64 v[136:137], v[237:238], s[6:7], v[138:139]
	v_add3_u32 v28, 0, v119, v241
	v_add3_u32 v29, 0, v153, v242
	;; [unrolled: 1-line block ×5, first 2 shown]
	s_barrier
	buffer_gl0_inv
	ds_store_b128 v240, v[0:3]
	ds_store_b128 v240, v[42:45] offset:48
	ds_store_b128 v240, v[46:49] offset:96
	ds_store_b128 v246, v[4:7]
	ds_store_b128 v246, v[50:53] offset:48
	ds_store_b128 v246, v[54:57] offset:96
	;; [unrolled: 3-line block ×10, first 2 shown]
	s_waitcnt lgkmcnt(0)
	s_barrier
	buffer_gl0_inv
	s_clause 0x4
	global_load_b128 v[8:11], v80, s[4:5] offset:96
	global_load_b128 v[4:7], v80, s[4:5] offset:112
	;; [unrolled: 1-line block ×5, first 2 shown]
	v_mul_lo_u16 v12, v127, 57
	s_clause 0x2
	global_load_b128 v[24:27], v80, s[4:5] offset:176
	global_load_b128 v[20:23], v80, s[4:5] offset:192
	;; [unrolled: 1-line block ×3, first 2 shown]
	v_mul_u32_u24_e32 v37, 0xe38f, v126
	v_lshrrev_b16 v132, 9, v12
	v_add_nc_u32_e32 v131, 0xffffffa6, v152
	v_mov_b32_e32 v157, 0
	v_mul_lo_u16 v127, 0xb7, v127
	v_lshrrev_b32_e32 v133, 19, v37
	v_mul_lo_u16 v12, v132, 9
	v_cndmask_b32_e64 v131, v131, v152, s0
	v_and_b32_e32 v132, 0xffff, v132
	v_mul_u32_u24_e32 v153, 0x5a0, v129
	v_mul_u32_u24_e32 v154, 0x5a0, v133
	v_sub_nc_u16 v12, v122, v12
	v_mul_i32_i24_e32 v156, 5, v131
	v_mul_u32_u24_e32 v155, 0x5a0, v132
	s_delay_alu instid0(VALU_DEP_3) | instskip(SKIP_3) | instid1(VALU_DEP_2)
	v_and_b32_e32 v130, 0xff, v12
	global_load_b128 v[12:15], v80, s[4:5] offset:224
	v_mul_u32_u24_e32 v36, 9, v130
	v_lshlrev_b32_e32 v251, 4, v130
	v_lshlrev_b32_e32 v48, 4, v36
	v_mul_lo_u16 v36, v133, 9
	s_clause 0x3
	global_load_b128 v[72:75], v48, s[4:5] offset:96
	global_load_b128 v[68:71], v48, s[4:5] offset:112
	global_load_b128 v[64:67], v48, s[4:5] offset:128
	global_load_b128 v[56:59], v48, s[4:5] offset:144
	v_sub_nc_u16 v36, v120, v36
	s_clause 0x1
	global_load_b128 v[52:55], v48, s[4:5] offset:160
	global_load_b128 v[44:47], v48, s[4:5] offset:176
	v_and_b32_e32 v134, 0xffff, v36
	s_clause 0x1
	global_load_b128 v[40:43], v48, s[4:5] offset:192
	global_load_b128 v[36:39], v48, s[4:5] offset:208
	v_mul_u32_u24_e32 v49, 9, v134
	v_lshlrev_b32_e32 v252, 4, v134
	s_delay_alu instid0(VALU_DEP_2)
	v_lshlrev_b32_e32 v104, 4, v49
	s_clause 0x9
	global_load_b128 v[48:51], v48, s[4:5] offset:224
	global_load_b128 v[60:63], v104, s[4:5] offset:96
	;; [unrolled: 1-line block ×10, first 2 shown]
	ds_load_b128 v[108:111], v164 offset:5184
	ds_load_b128 v[112:115], v164 offset:10368
	;; [unrolled: 1-line block ×22, first 2 shown]
	s_waitcnt vmcnt(26) lgkmcnt(21)
	v_mul_f64 v[162:163], v[110:111], v[10:11]
	v_mul_f64 v[10:11], v[108:109], v[10:11]
	s_waitcnt vmcnt(24) lgkmcnt(19)
	v_mul_f64 v[225:226], v[118:119], v[2:3]
	v_mul_f64 v[227:228], v[116:117], v[2:3]
	;; [unrolled: 3-line block ×4, first 2 shown]
	v_mul_f64 v[221:222], v[114:115], v[6:7]
	v_mul_f64 v[223:224], v[112:113], v[6:7]
	s_waitcnt vmcnt(21) lgkmcnt(14)
	v_mul_f64 v[235:236], v[160:161], v[26:27]
	v_mul_f64 v[26:27], v[158:159], v[26:27]
	s_waitcnt vmcnt(20) lgkmcnt(12)
	;; [unrolled: 3-line block ×3, first 2 shown]
	v_mul_f64 v[239:240], v[179:180], v[18:19]
	v_mul_f64 v[18:19], v[177:178], v[18:19]
	v_fma_f64 v[162:163], v[108:109], v[8:9], -v[162:163]
	v_fma_f64 v[241:242], v[110:111], v[8:9], v[10:11]
	v_fma_f64 v[225:226], v[116:117], v[0:1], -v[225:226]
	v_fma_f64 v[0:1], v[118:119], v[0:1], v[227:228]
	s_waitcnt vmcnt(17)
	v_mul_f64 v[227:228], v[141:142], v[74:75]
	v_mul_f64 v[74:75], v[139:140], v[74:75]
	v_fma_f64 v[34:35], v[137:138], v[32:33], v[34:35]
	s_waitcnt vmcnt(16) lgkmcnt(3)
	v_mul_f64 v[137:138], v[207:208], v[70:71]
	v_mul_f64 v[70:71], v[205:206], v[70:71]
	v_fma_f64 v[143:144], v[143:144], v[28:29], -v[231:232]
	v_fma_f64 v[28:29], v[145:146], v[28:29], v[233:234]
	s_waitcnt vmcnt(15)
	v_mul_f64 v[145:146], v[167:168], v[66:67]
	v_mul_f64 v[66:67], v[165:166], v[66:67]
	ds_load_b128 v[6:9], v164 offset:32832
	ds_load_b128 v[108:111], v164 offset:34560
	v_fma_f64 v[221:222], v[112:113], v[4:5], -v[221:222]
	v_fma_f64 v[223:224], v[114:115], v[4:5], v[223:224]
	ds_load_b128 v[2:5], v164 offset:43200
	ds_load_b128 v[112:115], v164 offset:44928
	v_fma_f64 v[135:136], v[135:136], v[32:33], -v[229:230]
	s_waitcnt vmcnt(14) lgkmcnt(5)
	v_mul_f64 v[229:230], v[215:216], v[58:59]
	v_mul_f64 v[58:59], v[213:214], v[58:59]
	v_fma_f64 v[158:159], v[158:159], v[24:25], -v[235:236]
	v_fma_f64 v[24:25], v[160:161], v[24:25], v[26:27]
	s_waitcnt vmcnt(13)
	v_mul_f64 v[26:27], v[183:184], v[54:55]
	v_mul_f64 v[54:55], v[181:182], v[54:55]
	v_fma_f64 v[169:170], v[169:170], v[20:21], -v[237:238]
	v_fma_f64 v[20:21], v[171:172], v[20:21], v[22:23]
	s_waitcnt vmcnt(11)
	v_mul_f64 v[22:23], v[195:196], v[42:43]
	v_mul_f64 v[42:43], v[193:194], v[42:43]
	v_fma_f64 v[18:19], v[179:180], v[16:17], v[18:19]
	s_waitcnt vmcnt(9)
	v_mul_f64 v[179:180], v[203:204], v[50:51]
	v_mul_f64 v[50:51], v[201:202], v[50:51]
	s_waitcnt vmcnt(8)
	v_mul_f64 v[231:232], v[149:150], v[62:63]
	s_waitcnt lgkmcnt(3)
	v_mul_f64 v[160:161], v[8:9], v[46:47]
	v_mul_f64 v[46:47], v[6:7], v[46:47]
	;; [unrolled: 1-line block ×3, first 2 shown]
	s_waitcnt lgkmcnt(1)
	v_mul_f64 v[171:172], v[4:5], v[38:39]
	v_mul_f64 v[38:39], v[2:3], v[38:39]
	s_waitcnt vmcnt(7)
	v_mul_f64 v[233:234], v[211:212], v[78:79]
	v_mul_f64 v[78:79], v[209:210], v[78:79]
	s_waitcnt vmcnt(6)
	v_mul_f64 v[235:236], v[175:176], v[82:83]
	v_mul_f64 v[82:83], v[173:174], v[82:83]
	;; [unrolled: 1-line block ×3, first 2 shown]
	v_fma_f64 v[139:140], v[139:140], v[72:73], -v[227:228]
	v_fma_f64 v[72:73], v[141:142], v[72:73], v[74:75]
	s_waitcnt vmcnt(5)
	v_mul_f64 v[74:75], v[219:220], v[86:87]
	v_mul_f64 v[86:87], v[217:218], v[86:87]
	v_fma_f64 v[137:138], v[205:206], v[68:69], -v[137:138]
	v_fma_f64 v[68:69], v[207:208], v[68:69], v[70:71]
	s_waitcnt vmcnt(3)
	v_mul_f64 v[70:71], v[110:111], v[94:95]
	v_mul_f64 v[94:95], v[108:109], v[94:95]
	v_fma_f64 v[145:146], v[165:166], v[64:65], -v[145:146]
	v_fma_f64 v[64:65], v[167:168], v[64:65], v[66:67]
	s_waitcnt vmcnt(1) lgkmcnt(0)
	v_mul_f64 v[66:67], v[114:115], v[102:103]
	v_mul_f64 v[165:166], v[112:113], v[102:103]
	;; [unrolled: 1-line block ×3, first 2 shown]
	ds_load_b128 v[30:33], v164 offset:50112
	ds_load_b128 v[116:119], v164
	v_fma_f64 v[177:178], v[177:178], v[16:17], -v[239:240]
	v_mul_f64 v[141:142], v[191:192], v[90:91]
	v_mul_f64 v[90:91], v[189:190], v[90:91]
	;; [unrolled: 1-line block ×4, first 2 shown]
	v_fma_f64 v[207:208], v[213:214], v[56:57], -v[229:230]
	v_fma_f64 v[56:57], v[215:216], v[56:57], v[58:59]
	v_fma_f64 v[26:27], v[181:182], v[52:53], -v[26:27]
	v_fma_f64 v[52:53], v[183:184], v[52:53], v[54:55]
	;; [unrolled: 2-line block ×3, first 2 shown]
	v_add_f64 v[129:130], v[143:144], v[169:170]
	v_lshlrev_b64 v[213:214], 4, v[156:157]
	v_fma_f64 v[42:43], v[147:148], v[60:61], -v[231:232]
	v_fma_f64 v[6:7], v[6:7], v[44:45], -v[160:161]
	v_fma_f64 v[8:9], v[8:9], v[44:45], v[46:47]
	v_fma_f64 v[44:45], v[149:150], v[60:61], v[62:63]
	v_fma_f64 v[2:3], v[2:3], v[36:37], -v[171:172]
	v_fma_f64 v[4:5], v[4:5], v[36:37], v[38:39]
	v_fma_f64 v[36:37], v[201:202], v[48:49], -v[179:180]
	;; [unrolled: 2-line block ×3, first 2 shown]
	v_fma_f64 v[48:49], v[211:212], v[76:77], v[78:79]
	v_fma_f64 v[54:55], v[175:176], v[80:81], v[82:83]
	s_waitcnt vmcnt(0) lgkmcnt(1)
	v_mul_f64 v[167:168], v[32:33], v[106:107]
	v_mul_f64 v[106:107], v[30:31], v[106:107]
	v_fma_f64 v[58:59], v[217:218], v[84:85], -v[74:75]
	v_fma_f64 v[60:61], v[219:220], v[84:85], v[86:87]
	v_fma_f64 v[185:186], v[185:186], v[12:13], -v[10:11]
	v_fma_f64 v[50:51], v[173:174], v[80:81], -v[235:236]
	v_fma_f64 v[70:71], v[108:109], v[92:93], -v[70:71]
	v_fma_f64 v[76:77], v[110:111], v[92:93], v[94:95]
	v_add_f64 v[84:85], v[135:136], v[158:159]
	v_add_f64 v[173:174], v[34:35], -v[223:224]
	v_fma_f64 v[66:67], v[112:113], v[100:101], -v[66:67]
	v_fma_f64 v[82:83], v[114:115], v[100:101], v[165:166]
	v_fma_f64 v[187:188], v[187:188], v[12:13], v[14:15]
	ds_load_b128 v[10:13], v164 offset:1728
	ds_load_b128 v[14:17], v164 offset:3456
	v_add_f64 v[86:87], v[221:222], v[177:178]
	v_fma_f64 v[62:63], v[189:190], v[88:89], -v[141:142]
	v_fma_f64 v[74:75], v[191:192], v[88:89], v[90:91]
	v_fma_f64 v[78:79], v[197:198], v[96:97], -v[205:206]
	v_fma_f64 v[80:81], v[199:200], v[96:97], v[98:99]
	v_add_f64 v[88:89], v[34:35], v[24:25]
	v_add_f64 v[90:91], v[223:224], v[18:19]
	;; [unrolled: 1-line block ×4, first 2 shown]
	v_add_f64 v[100:101], v[221:222], -v[135:136]
	v_add_f64 v[171:172], v[158:159], -v[177:178]
	;; [unrolled: 1-line block ×3, first 2 shown]
	v_lshrrev_b16 v102, 14, v127
	v_lshlrev_b32_e32 v156, 4, v128
	v_add_f64 v[175:176], v[207:208], v[6:7]
	v_add_f64 v[181:182], v[56:57], v[8:9]
	v_add_f64 v[109:110], v[225:226], -v[143:144]
	v_add_f64 v[179:180], v[137:138], v[2:3]
	v_add_f64 v[183:184], v[68:69], v[4:5]
	v_add_f64 v[113:114], v[0:1], -v[28:29]
	v_add_f64 v[132:133], v[28:29], v[20:21]
	v_add_f64 v[205:206], v[28:29], -v[0:1]
	s_waitcnt lgkmcnt(2)
	v_add_f64 v[94:95], v[118:119], v[223:224]
	v_add_f64 v[165:166], v[223:224], -v[18:19]
	v_fma_f64 v[30:31], v[30:31], v[104:105], -v[167:168]
	v_fma_f64 v[32:33], v[32:33], v[104:105], v[106:107]
	v_add_f64 v[103:104], v[177:178], -v[158:159]
	v_add_f64 v[167:168], v[135:136], -v[221:222]
	v_add_f64 v[201:202], v[225:226], v[185:186]
	v_add_f64 v[105:106], v[223:224], -v[34:35]
	v_add_f64 v[193:194], v[58:59], v[70:71]
	v_add_f64 v[197:198], v[60:61], v[76:77]
	v_add_f64 v[107:108], v[18:19], -v[24:25]
	v_add_f64 v[111:112], v[185:186], -v[169:170]
	v_add_f64 v[195:196], v[46:47], v[66:67]
	v_add_f64 v[199:200], v[48:49], v[82:83]
	v_add_f64 v[127:128], v[187:188], -v[20:21]
	v_add_f64 v[149:150], v[0:1], -v[187:188]
	v_add_f64 v[0:1], v[0:1], v[187:188]
	v_add_f64 v[141:142], v[225:226], -v[185:186]
	v_add_f64 v[191:192], v[143:144], -v[225:226]
	;; [unrolled: 1-line block ×10, first 2 shown]
	v_add_f64 v[92:93], v[116:117], v[221:222]
	v_add_f64 v[147:148], v[143:144], -v[169:170]
	s_waitcnt lgkmcnt(0)
	v_add_f64 v[217:218], v[14:15], v[46:47]
	v_add_f64 v[219:220], v[16:17], v[48:49]
	v_fma_f64 v[84:85], v[84:85], -0.5, v[116:117]
	v_fma_f64 v[86:87], v[86:87], -0.5, v[116:117]
	;; [unrolled: 1-line block ×4, first 2 shown]
	v_add_f64 v[117:118], v[26:27], -v[145:146]
	v_add_f64 v[96:97], v[96:97], v[143:144]
	v_add_f64 v[143:144], v[40:41], -v[38:39]
	v_add_f64 v[160:161], v[28:29], -v[20:21]
	v_add_f64 v[211:212], v[10:11], v[137:138]
	v_add_f64 v[239:240], v[26:27], v[22:23]
	v_fma_f64 v[175:176], v[175:176], -0.5, v[10:11]
	v_fma_f64 v[10:11], v[179:180], -0.5, v[10:11]
	v_fma_f64 v[179:180], v[181:182], -0.5, v[12:13]
	v_add_f64 v[181:182], v[145:146], v[36:37]
	v_add_f64 v[28:29], v[98:99], v[28:29]
	v_fma_f64 v[193:194], v[193:194], -0.5, v[14:15]
	v_add_f64 v[98:99], v[46:47], -v[58:59]
	v_add_f64 v[100:101], v[100:101], v[103:104]
	v_add_f64 v[103:104], v[66:67], -v[70:71]
	v_fma_f64 v[14:15], v[195:196], -0.5, v[14:15]
	v_fma_f64 v[195:196], v[197:198], -0.5, v[16:17]
	;; [unrolled: 1-line block ×3, first 2 shown]
	v_add_f64 v[197:198], v[22:23], -v[36:37]
	v_add_f64 v[199:200], v[52:53], -v[64:65]
	v_add_f64 v[215:216], v[12:13], v[68:69]
	v_add_f64 v[243:244], v[52:53], v[40:41]
	;; [unrolled: 1-line block ×6, first 2 shown]
	v_fma_f64 v[12:13], v[183:184], -0.5, v[12:13]
	v_add_f64 v[183:184], v[64:65], v[38:39]
	v_fma_f64 v[129:130], v[129:130], -0.5, v[162:163]
	v_fma_f64 v[162:163], v[201:202], -0.5, v[162:163]
	v_add_f64 v[201:202], v[42:43], v[50:51]
	v_add_f64 v[105:106], v[105:106], v[107:108]
	v_add_f64 v[107:108], v[48:49], -v[60:61]
	v_add_f64 v[109:110], v[109:110], v[111:112]
	v_add_f64 v[111:112], v[82:83], -v[76:77]
	;; [unrolled: 2-line block ×3, first 2 shown]
	v_fma_f64 v[132:133], v[132:133], -0.5, v[241:242]
	v_fma_f64 v[0:1], v[0:1], -0.5, v[241:242]
	v_add_f64 v[241:242], v[30:31], -v[78:79]
	v_add_f64 v[245:246], v[207:208], -v[137:138]
	;; [unrolled: 1-line block ×5, first 2 shown]
	v_add_f64 v[191:192], v[191:192], v[203:204]
	v_add_f64 v[203:204], v[44:45], v[54:55]
	;; [unrolled: 1-line block ×3, first 2 shown]
	v_add_f64 v[209:210], v[54:55], -v[74:75]
	v_add_f64 v[223:224], v[223:224], v[225:226]
	v_add_f64 v[225:226], v[32:33], -v[80:81]
	v_add_f64 v[227:228], v[227:228], v[229:230]
	v_add_f64 v[229:230], v[62:63], v[78:79]
	v_add_f64 v[231:232], v[231:232], v[233:234]
	v_add_f64 v[233:234], v[74:75], v[80:81]
	v_add_f64 v[94:95], v[94:95], v[34:35]
	v_fma_f64 v[239:240], v[239:240], -0.5, v[139:140]
	v_add_f64 v[117:118], v[117:118], v[197:198]
	v_add_f64 v[197:198], v[50:51], v[30:31]
	;; [unrolled: 1-line block ×4, first 2 shown]
	v_fma_f64 v[139:140], v[181:182], -0.5, v[139:140]
	v_add_f64 v[181:182], v[62:63], -v[50:51]
	v_add_f64 v[98:99], v[98:99], v[103:104]
	v_add_f64 v[103:104], v[78:79], -v[30:31]
	v_add_f64 v[235:236], v[64:65], -v[52:53]
	;; [unrolled: 1-line block ×3, first 2 shown]
	v_add_f64 v[92:93], v[92:93], v[135:136]
	v_add_f64 v[221:222], v[221:222], -v[177:178]
	v_fma_f64 v[243:244], v[243:244], -0.5, v[72:73]
	v_add_f64 v[145:146], v[145:146], -v[36:37]
	v_add_f64 v[171:172], v[171:172], v[26:27]
	v_add_f64 v[64:65], v[64:65], -v[38:39]
	v_add_f64 v[189:190], v[189:190], v[52:53]
	v_add_f64 v[215:216], v[215:216], v[56:57]
	;; [unrolled: 1-line block ×3, first 2 shown]
	v_fma_f64 v[72:73], v[183:184], -0.5, v[72:73]
	v_add_f64 v[26:27], v[26:27], -v[22:23]
	v_add_f64 v[52:53], v[52:53], -v[40:41]
	v_add_f64 v[219:220], v[219:220], v[60:61]
	v_add_f64 v[56:57], v[56:57], -v[8:9]
	v_add_f64 v[207:208], v[207:208], -v[6:7]
	v_add_f64 v[201:202], v[201:202], v[62:63]
	v_add_f64 v[217:218], v[217:218], v[58:59]
	v_add_f64 v[107:108], v[107:108], v[111:112]
	v_add_f64 v[111:112], v[74:75], -v[54:55]
	v_add_f64 v[127:128], v[127:128], v[241:242]
	v_add_f64 v[241:242], v[80:81], -v[32:33]
	v_add_f64 v[245:246], v[245:246], v[247:248]
	;; [unrolled: 2-line block ×3, first 2 shown]
	v_add_f64 v[249:250], v[76:77], -v[82:83]
	v_add_f64 v[50:51], v[50:51], -v[30:31]
	;; [unrolled: 1-line block ×3, first 2 shown]
	v_add_f64 v[203:204], v[203:204], v[74:75]
	v_add_f64 v[209:210], v[209:210], v[225:226]
	v_fma_f64 v[225:226], v[229:230], -0.5, v[42:43]
	v_fma_f64 v[229:230], v[233:234], -0.5, v[44:45]
	v_add_f64 v[34:35], v[34:35], -v[24:25]
	v_add_f64 v[62:63], v[62:63], -v[78:79]
	;; [unrolled: 1-line block ×3, first 2 shown]
	v_fma_f64 v[44:45], v[199:200], -0.5, v[44:45]
	v_fma_f64 v[42:43], v[197:198], -0.5, v[42:43]
	v_add_f64 v[24:25], v[94:95], v[24:25]
	v_add_f64 v[94:95], v[96:97], v[169:170]
	;; [unrolled: 1-line block ×3, first 2 shown]
	v_fma_f64 v[28:29], v[141:142], s[16:17], v[132:133]
	v_fma_f64 v[96:97], v[149:150], s[12:13], v[129:130]
	v_add_f64 v[103:104], v[181:182], v[103:104]
	v_fma_f64 v[181:182], v[147:148], s[12:13], v[0:1]
	v_fma_f64 v[197:198], v[160:161], s[16:17], v[162:163]
	;; [unrolled: 1-line block ×4, first 2 shown]
	v_add_f64 v[235:236], v[235:236], v[237:238]
	v_add_f64 v[237:238], v[58:59], -v[46:47]
	v_add_f64 v[183:184], v[70:71], -v[66:67]
	;; [unrolled: 1-line block ×3, first 2 shown]
	v_add_f64 v[92:93], v[92:93], v[158:159]
	v_fma_f64 v[158:159], v[165:166], s[12:13], v[84:85]
	v_fma_f64 v[169:170], v[221:222], s[16:17], v[88:89]
	v_fma_f64 v[129:130], v[149:150], s[16:17], v[129:130]
	v_fma_f64 v[84:85], v[165:166], s[16:17], v[84:85]
	v_fma_f64 v[88:89], v[221:222], s[12:13], v[88:89]
	v_fma_f64 v[132:133], v[141:142], s[12:13], v[132:133]
	v_add_f64 v[6:7], v[211:212], v[6:7]
	v_add_f64 v[8:9], v[215:216], v[8:9]
	;; [unrolled: 1-line block ×4, first 2 shown]
	v_fma_f64 v[171:172], v[145:146], s[16:17], v[243:244]
	v_fma_f64 v[189:190], v[64:65], s[12:13], v[239:240]
	v_add_f64 v[60:61], v[60:61], -v[76:77]
	v_add_f64 v[76:77], v[219:220], v[76:77]
	v_fma_f64 v[211:212], v[26:27], s[12:13], v[72:73]
	v_fma_f64 v[215:216], v[52:53], s[16:17], v[139:140]
	v_add_f64 v[68:69], v[68:69], -v[4:5]
	v_add_f64 v[136:137], v[137:138], -v[2:3]
	;; [unrolled: 1-line block ×3, first 2 shown]
	v_add_f64 v[70:71], v[217:218], v[70:71]
	v_add_f64 v[78:79], v[201:202], v[78:79]
	v_fma_f64 v[217:218], v[56:57], s[16:17], v[10:11]
	v_fma_f64 v[219:220], v[207:208], s[12:13], v[12:13]
	;; [unrolled: 1-line block ×6, first 2 shown]
	v_add_f64 v[111:112], v[111:112], v[241:242]
	v_fma_f64 v[239:240], v[64:65], s[16:17], v[239:240]
	v_fma_f64 v[241:242], v[145:146], s[12:13], v[243:244]
	v_add_f64 v[199:200], v[247:248], v[249:250]
	v_add_f64 v[80:81], v[203:204], v[80:81]
	v_fma_f64 v[243:244], v[50:51], s[16:17], v[229:230]
	v_fma_f64 v[247:248], v[54:55], s[12:13], v[225:226]
	v_add_f64 v[18:19], v[24:25], v[18:19]
	v_fma_f64 v[24:25], v[62:63], s[12:13], v[44:45]
	v_add_f64 v[94:95], v[94:95], v[185:186]
	v_fma_f64 v[185:186], v[74:75], s[16:17], v[42:43]
	v_fma_f64 v[42:43], v[74:75], s[12:13], v[42:43]
	;; [unrolled: 1-line block ×13, first 2 shown]
	v_add_f64 v[183:184], v[237:238], v[183:184]
	v_fma_f64 v[237:238], v[134:135], s[12:13], v[90:91]
	v_fma_f64 v[90:91], v[134:135], s[16:17], v[90:91]
	;; [unrolled: 1-line block ×8, first 2 shown]
	v_add_f64 v[132:133], v[6:7], v[2:3]
	v_add_f64 v[134:135], v[8:9], v[4:5]
	v_fma_f64 v[4:5], v[26:27], s[14:15], v[171:172]
	v_fma_f64 v[6:7], v[52:53], s[10:11], v[189:190]
	v_add_f64 v[92:93], v[92:93], v[177:178]
	v_add_f64 v[22:23], v[22:23], v[36:37]
	;; [unrolled: 1-line block ×4, first 2 shown]
	v_fma_f64 v[8:9], v[145:146], s[14:15], v[211:212]
	v_fma_f64 v[76:77], v[64:65], s[10:11], v[215:216]
	v_add_f64 v[48:49], v[48:49], -v[82:83]
	v_fma_f64 v[201:202], v[68:69], s[12:13], v[175:176]
	v_fma_f64 v[175:176], v[68:69], s[16:17], v[175:176]
	v_add_f64 v[30:31], v[78:79], v[30:31]
	v_fma_f64 v[78:79], v[68:69], s[10:11], v[217:218]
	v_fma_f64 v[68:69], v[68:69], s[14:15], v[10:11]
	;; [unrolled: 1-line block ×5, first 2 shown]
	v_add_f64 v[46:47], v[46:47], -v[66:67]
	v_fma_f64 v[52:53], v[52:53], s[14:15], v[239:240]
	v_fma_f64 v[26:27], v[26:27], s[10:11], v[241:242]
	;; [unrolled: 1-line block ×4, first 2 shown]
	v_add_f64 v[32:33], v[80:81], v[32:33]
	v_fma_f64 v[80:81], v[136:137], s[14:15], v[219:220]
	v_fma_f64 v[72:73], v[62:63], s[14:15], v[243:244]
	;; [unrolled: 1-line block ×22, first 2 shown]
	v_add_f64 v[20:21], v[20:21], v[187:188]
	v_fma_f64 v[187:188], v[60:61], s[16:17], v[14:15]
	v_fma_f64 v[14:15], v[60:61], s[12:13], v[14:15]
	;; [unrolled: 1-line block ×4, first 2 shown]
	v_add_f64 v[0:1], v[92:93], v[94:95]
	v_add_f64 v[4:5], v[92:93], -v[94:95]
	v_fma_f64 v[92:93], v[143:144], s[18:19], v[8:9]
	v_fma_f64 v[76:77], v[117:118], s[18:19], v[76:77]
	;; [unrolled: 1-line block ×3, first 2 shown]
	v_add_f64 v[38:39], v[70:71], v[66:67]
	v_fma_f64 v[117:118], v[117:118], s[18:19], v[10:11]
	v_fma_f64 v[142:143], v[143:144], s[18:19], v[12:13]
	;; [unrolled: 1-line block ×16, first 2 shown]
	v_mul_f64 v[103:104], v[28:29], s[10:11]
	v_mul_f64 v[111:112], v[62:63], s[14:15]
	v_fma_f64 v[96:97], v[46:47], s[14:15], v[165:166]
	v_fma_f64 v[165:166], v[167:168], s[18:19], v[233:234]
	v_fma_f64 v[86:87], v[167:168], s[18:19], v[86:87]
	v_mul_f64 v[127:128], v[147:148], s[12:13]
	v_mul_f64 v[167:168], v[160:161], s[16:17]
	v_fma_f64 v[94:95], v[100:101], s[18:19], v[158:159]
	v_fma_f64 v[158:159], v[105:106], s[18:19], v[169:170]
	;; [unrolled: 1-line block ×4, first 2 shown]
	v_mul_f64 v[34:35], v[149:150], s[18:19]
	v_mul_f64 v[105:106], v[162:163], s[18:19]
	v_fma_f64 v[66:67], v[56:57], s[10:11], v[201:202]
	v_fma_f64 v[56:57], v[56:57], s[14:15], v[175:176]
	;; [unrolled: 1-line block ×5, first 2 shown]
	v_mul_f64 v[171:172], v[109:110], s[20:21]
	v_mul_f64 v[173:174], v[88:89], s[20:21]
	v_fma_f64 v[70:71], v[207:208], s[14:15], v[203:204]
	v_fma_f64 v[74:75], v[48:49], s[10:11], v[187:188]
	;; [unrolled: 1-line block ×3, first 2 shown]
	v_add_f64 v[8:9], v[132:133], v[22:23]
	v_add_f64 v[10:11], v[134:135], v[36:37]
	v_add_f64 v[12:13], v[132:133], -v[22:23]
	v_add_f64 v[14:15], v[134:135], -v[36:37]
	v_mul_f64 v[36:37], v[113:114], s[10:11]
	v_mul_f64 v[132:133], v[129:130], s[14:15]
	;; [unrolled: 1-line block ×4, first 2 shown]
	v_fma_f64 v[46:47], v[46:47], s[10:11], v[16:17]
	v_add_f64 v[2:3], v[18:19], v[20:21]
	v_add_f64 v[6:7], v[18:19], -v[20:21]
	v_add_f64 v[16:17], v[38:39], v[30:31]
	v_add_f64 v[18:19], v[40:41], v[32:33]
	v_add_f64 v[20:21], v[38:39], -v[30:31]
	v_add_f64 v[22:23], v[40:41], -v[32:33]
	v_mul_f64 v[30:31], v[117:118], s[18:19]
	v_mul_f64 v[32:33], v[142:143], s[18:19]
	v_fma_f64 v[138:139], v[60:61], s[10:11], v[249:250]
	v_fma_f64 v[140:141], v[58:59], s[14:15], v[177:178]
	;; [unrolled: 1-line block ×4, first 2 shown]
	v_mul_f64 v[38:39], v[52:53], s[20:21]
	v_mul_f64 v[40:41], v[26:27], s[20:21]
	v_mul_f64 v[177:178], v[72:73], s[10:11]
	v_mul_f64 v[179:180], v[136:137], s[14:15]
	v_mul_f64 v[181:182], v[24:25], s[12:13]
	v_mul_f64 v[185:186], v[144:145], s[16:17]
	v_mul_f64 v[187:188], v[42:43], s[18:19]
	v_mul_f64 v[189:190], v[44:45], s[18:19]
	v_mul_f64 v[191:192], v[50:51], s[20:21]
	v_mul_f64 v[193:194], v[54:55], s[20:21]
	v_fma_f64 v[62:63], v[62:63], s[20:21], v[103:104]
	v_fma_f64 v[103:104], v[28:29], s[20:21], v[111:112]
	;; [unrolled: 1-line block ×5, first 2 shown]
	v_fma_f64 v[68:69], v[162:163], s[12:13], -v[34:35]
	v_fma_f64 v[105:106], v[149:150], s[16:17], -v[105:106]
	v_fma_f64 v[80:81], v[115:116], s[18:19], v[80:81]
	v_fma_f64 v[82:83], v[115:116], s[18:19], v[82:83]
	;; [unrolled: 1-line block ×4, first 2 shown]
	v_fma_f64 v[56:57], v[88:89], s[10:11], -v[171:172]
	v_fma_f64 v[64:65], v[109:110], s[14:15], -v[173:174]
	v_fma_f64 v[66:67], v[223:224], s[18:19], v[66:67]
	v_fma_f64 v[70:71], v[227:228], s[18:19], v[70:71]
	;; [unrolled: 1-line block ×9, first 2 shown]
	v_fma_f64 v[92:93], v[142:143], s[12:13], -v[30:31]
	v_fma_f64 v[96:97], v[117:118], s[16:17], -v[32:33]
	v_fma_f64 v[109:110], v[98:99], s[18:19], v[138:139]
	v_fma_f64 v[138:139], v[107:108], s[18:19], v[140:141]
	;; [unrolled: 1-line block ×4, first 2 shown]
	v_fma_f64 v[98:99], v[26:27], s[10:11], -v[38:39]
	v_fma_f64 v[107:108], v[52:53], s[14:15], -v[40:41]
	v_fma_f64 v[117:118], v[136:137], s[20:21], v[177:178]
	v_fma_f64 v[136:137], v[72:73], s[20:21], v[179:180]
	;; [unrolled: 1-line block ×6, first 2 shown]
	v_fma_f64 v[162:163], v[44:45], s[12:13], -v[187:188]
	v_fma_f64 v[167:168], v[42:43], s[16:17], -v[189:190]
	v_fma_f64 v[171:172], v[54:55], s[10:11], -v[191:192]
	v_fma_f64 v[173:174], v[50:51], s[14:15], -v[193:194]
	v_add_f64 v[24:25], v[94:95], v[62:63]
	v_add_f64 v[26:27], v[158:159], v[103:104]
	;; [unrolled: 1-line block ×6, first 2 shown]
	v_add_f64 v[28:29], v[94:95], -v[62:63]
	v_add_f64 v[30:31], v[158:159], -v[103:104]
	;; [unrolled: 1-line block ×3, first 2 shown]
	v_add_f64 v[48:49], v[100:101], v[56:57]
	v_add_f64 v[50:51], v[84:85], v[64:65]
	v_add_f64 v[38:39], v[169:170], -v[127:128]
	v_add_f64 v[44:45], v[86:87], -v[68:69]
	;; [unrolled: 1-line block ×5, first 2 shown]
	v_add_f64 v[56:57], v[66:67], v[88:89]
	v_add_f64 v[58:59], v[70:71], v[113:114]
	v_add_f64 v[60:61], v[66:67], -v[88:89]
	v_add_f64 v[64:65], v[78:79], v[74:75]
	v_add_f64 v[66:67], v[80:81], v[76:77]
	v_add_f64 v[68:69], v[78:79], -v[74:75]
	;; [unrolled: 3-line block ×3, first 2 shown]
	v_add_f64 v[70:71], v[80:81], -v[76:77]
	v_add_f64 v[78:79], v[82:83], -v[96:97]
	v_add_f64 v[80:81], v[115:116], v[98:99]
	v_add_f64 v[82:83], v[148:149], v[107:108]
	v_add_f64 v[76:77], v[146:147], -v[92:93]
	v_add_f64 v[84:85], v[115:116], -v[98:99]
	;; [unrolled: 1-line block ×3, first 2 shown]
	v_add_f64 v[88:89], v[109:110], v[117:118]
	v_add_f64 v[90:91], v[138:139], v[136:137]
	;; [unrolled: 1-line block ×4, first 2 shown]
	v_add_f64 v[92:93], v[109:110], -v[117:118]
	v_add_f64 v[107:108], v[134:135], v[162:163]
	v_add_f64 v[109:110], v[140:141], v[167:168]
	;; [unrolled: 1-line block ×4, first 2 shown]
	v_add_f64 v[94:95], v[138:139], -v[136:137]
	v_add_f64 v[103:104], v[129:130], -v[144:145]
	;; [unrolled: 1-line block ×7, first 2 shown]
	v_add_co_u32 v132, s0, s4, v213
	s_delay_alu instid0(VALU_DEP_1)
	v_add_co_ci_u32_e64 v133, s0, s5, v214, s0
	v_add3_u32 v100, 0, v153, v156
	v_add3_u32 v101, 0, v155, v251
	;; [unrolled: 1-line block ×3, first 2 shown]
	s_barrier
	buffer_gl0_inv
	ds_store_b128 v100, v[0:3]
	ds_store_b128 v100, v[24:27] offset:144
	ds_store_b128 v100, v[32:35] offset:288
	ds_store_b128 v100, v[40:43] offset:432
	ds_store_b128 v100, v[48:51] offset:576
	ds_store_b128 v100, v[4:7] offset:720
	ds_store_b128 v100, v[28:31] offset:864
	ds_store_b128 v100, v[36:39] offset:1008
	ds_store_b128 v100, v[44:47] offset:1152
	ds_store_b128 v100, v[52:55] offset:1296
	ds_store_b128 v101, v[8:11]
	ds_store_b128 v101, v[56:59] offset:144
	ds_store_b128 v101, v[64:67] offset:288
	ds_store_b128 v101, v[72:75] offset:432
	ds_store_b128 v101, v[80:83] offset:576
	ds_store_b128 v101, v[12:15] offset:720
	ds_store_b128 v101, v[60:63] offset:864
	ds_store_b128 v101, v[68:71] offset:1008
	ds_store_b128 v101, v[76:79] offset:1152
	ds_store_b128 v101, v[84:87] offset:1296
	;; [unrolled: 10-line block ×3, first 2 shown]
	s_waitcnt lgkmcnt(0)
	s_barrier
	buffer_gl0_inv
	s_clause 0x1
	global_load_b128 v[4:7], v[132:133], off offset:1392
	global_load_b128 v[0:3], v[132:133], off offset:1408
	v_mul_lo_u16 v8, 0x5a, v102
	v_mul_u32_u24_e32 v9, 0x2d83, v126
	global_load_b128 v[12:15], v[132:133], off offset:1424
	v_mul_u32_u24_e32 v18, 0x2d83, v125
	global_load_b128 v[20:23], v[132:133], off offset:1456
	v_sub_nc_u16 v8, v122, v8
	v_lshrrev_b32_e32 v101, 20, v9
	v_cmp_lt_u32_e64 s0, 0x59, v152
	v_lshrrev_b32_e32 v104, 20, v18
	v_and_b32_e32 v102, 0xffff, v102
	v_and_b32_e32 v100, 0xff, v8
	global_load_b128 v[8:11], v[132:133], off offset:1440
	v_mul_lo_u16 v17, 0x5a, v101
	v_mul_lo_u16 v26, 0x5a, v104
	v_mul_u32_u24_e32 v153, 0x21c0, v101
	v_mul_u32_u24_e32 v16, 5, v100
	;; [unrolled: 1-line block ×3, first 2 shown]
	v_sub_nc_u16 v25, v120, v17
	v_lshlrev_b32_e32 v237, 4, v100
	v_mul_u32_u24_e32 v154, 0x21c0, v104
	v_lshlrev_b32_e32 v24, 4, v16
	v_mul_u32_u24_e32 v108, 5, v152
	v_and_b32_e32 v103, 0xffff, v25
	v_mul_u32_u24_e32 v25, 0x2d83, v124
	v_lshlrev_b32_e32 v124, 4, v131
	s_clause 0x3
	global_load_b128 v[16:19], v24, s[4:5] offset:1392
	global_load_b128 v[80:83], v24, s[4:5] offset:1408
	;; [unrolled: 1-line block ×4, first 2 shown]
	v_mul_u32_u24_e32 v27, 5, v103
	v_lshrrev_b32_e32 v107, 20, v25
	v_sub_nc_u16 v25, v121, v26
	global_load_b128 v[64:67], v24, s[4:5] offset:1456
	v_lshlrev_b32_e32 v238, 4, v103
	v_lshlrev_b32_e32 v26, 4, v27
	v_mul_u32_u24_e32 v155, 0x21c0, v107
	v_and_b32_e32 v105, 0xffff, v25
	v_lshlrev_b32_e32 v108, 4, v108
	global_load_b128 v[52:55], v26, s[4:5] offset:1392
	v_mul_lo_u16 v24, 0x5a, v107
	v_mul_u32_u24_e32 v25, 5, v105
	s_clause 0x3
	global_load_b128 v[36:39], v26, s[4:5] offset:1408
	global_load_b128 v[32:35], v26, s[4:5] offset:1424
	;; [unrolled: 1-line block ×4, first 2 shown]
	v_sub_nc_u16 v24, v123, v24
	v_lshlrev_b32_e32 v28, 4, v25
	s_clause 0x1
	global_load_b128 v[60:63], v28, s[4:5] offset:1392
	global_load_b128 v[44:47], v28, s[4:5] offset:1408
	v_and_b32_e32 v106, 0xffff, v24
	s_clause 0x1
	global_load_b128 v[40:43], v28, s[4:5] offset:1424
	global_load_b128 v[24:27], v28, s[4:5] offset:1440
	v_cndmask_b32_e64 v123, 0, 0x21c0, s0
	v_add_co_u32 v109, s0, s4, v108
	v_mul_u32_u24_e32 v29, 5, v106
	v_add_co_ci_u32_e64 v110, null, s5, 0, s0
	s_delay_alu instid0(VALU_DEP_4) | instskip(NEXT) | instid1(VALU_DEP_3)
	v_add3_u32 v151, 0, v123, v124
	v_lshlrev_b32_e32 v96, 4, v29
	s_clause 0x5
	global_load_b128 v[28:31], v28, s[4:5] offset:1456
	global_load_b128 v[76:79], v96, s[4:5] offset:1392
	;; [unrolled: 1-line block ×6, first 2 shown]
	ds_load_b128 v[111:114], v164 offset:8640
	ds_load_b128 v[127:130], v164 offset:10368
	;; [unrolled: 1-line block ×25, first 2 shown]
	ds_load_b128 v[217:220], v164
	s_waitcnt vmcnt(24) lgkmcnt(25)
	v_mul_f64 v[162:163], v[113:114], v[6:7]
	v_mul_f64 v[6:7], v[111:112], v[6:7]
	s_waitcnt vmcnt(23) lgkmcnt(23)
	v_mul_f64 v[221:222], v[117:118], v[2:3]
	v_mul_f64 v[2:3], v[115:116], v[2:3]
	;; [unrolled: 3-line block ×4, first 2 shown]
	s_waitcnt vmcnt(20)
	v_mul_f64 v[225:226], v[125:126], v[10:11]
	v_mul_f64 v[10:11], v[123:124], v[10:11]
	s_waitcnt vmcnt(19)
	v_mul_f64 v[229:230], v[129:130], v[18:19]
	v_mul_f64 v[18:19], v[127:128], v[18:19]
	s_waitcnt vmcnt(18) lgkmcnt(15)
	v_mul_f64 v[231:232], v[149:150], v[82:83]
	v_mul_f64 v[82:83], v[147:148], v[82:83]
	s_waitcnt vmcnt(17)
	v_mul_f64 v[233:234], v[137:138], v[74:75]
	v_fma_f64 v[111:112], v[111:112], v[4:5], -v[162:163]
	v_fma_f64 v[113:114], v[113:114], v[4:5], v[6:7]
	v_mul_f64 v[4:5], v[135:136], v[74:75]
	s_waitcnt vmcnt(16) lgkmcnt(13)
	v_mul_f64 v[6:7], v[167:168], v[70:71]
	v_mul_f64 v[70:71], v[165:166], v[70:71]
	s_waitcnt vmcnt(15)
	v_mul_f64 v[74:75], v[145:146], v[66:67]
	v_fma_f64 v[115:116], v[115:116], v[0:1], -v[221:222]
	v_fma_f64 v[117:118], v[117:118], v[0:1], v[2:3]
	v_mul_f64 v[0:1], v[143:144], v[66:67]
	s_waitcnt vmcnt(14) lgkmcnt(11)
	v_mul_f64 v[66:67], v[175:176], v[54:55]
	v_mul_f64 v[54:55], v[173:174], v[54:55]
	s_waitcnt vmcnt(13)
	v_mul_f64 v[162:163], v[160:161], v[38:39]
	v_fma_f64 v[119:120], v[119:120], v[12:13], -v[223:224]
	v_mul_f64 v[38:39], v[158:159], v[38:39]
	s_waitcnt vmcnt(12) lgkmcnt(9)
	v_mul_f64 v[221:222], v[183:184], v[34:35]
	v_mul_f64 v[34:35], v[181:182], v[34:35]
	s_waitcnt vmcnt(11)
	v_mul_f64 v[223:224], v[171:172], v[50:51]
	v_fma_f64 v[123:124], v[123:124], v[8:9], -v[225:226]
	;; [unrolled: 7-line block ×3, first 2 shown]
	v_fma_f64 v[20:21], v[133:134], v[20:21], v[22:23]
	v_mul_f64 v[22:23], v[177:178], v[62:63]
	s_waitcnt vmcnt(8) lgkmcnt(5)
	v_mul_f64 v[62:63], v[199:200], v[46:47]
	v_mul_f64 v[46:47], v[197:198], v[46:47]
	s_waitcnt vmcnt(7)
	v_mul_f64 v[133:134], v[187:188], v[42:43]
	v_fma_f64 v[127:128], v[127:128], v[16:17], -v[229:230]
	v_fma_f64 v[16:17], v[129:130], v[16:17], v[18:19]
	v_mul_f64 v[18:19], v[185:186], v[42:43]
	s_waitcnt vmcnt(6) lgkmcnt(3)
	v_mul_f64 v[42:43], v[207:208], v[26:27]
	v_mul_f64 v[26:27], v[205:206], v[26:27]
	s_waitcnt vmcnt(5)
	v_mul_f64 v[129:130], v[195:196], v[30:31]
	v_mul_f64 v[30:31], v[193:194], v[30:31]
	v_fma_f64 v[147:148], v[147:148], v[80:81], -v[231:232]
	v_fma_f64 v[80:81], v[149:150], v[80:81], v[82:83]
	s_waitcnt vmcnt(4)
	v_mul_f64 v[82:83], v[102:103], v[78:79]
	v_mul_f64 v[78:79], v[100:101], v[78:79]
	s_waitcnt vmcnt(3)
	v_mul_f64 v[149:150], v[203:204], v[86:87]
	v_fma_f64 v[135:136], v[135:136], v[72:73], -v[233:234]
	v_fma_f64 v[72:73], v[137:138], v[72:73], v[4:5]
	v_mul_f64 v[86:87], v[201:202], v[86:87]
	s_waitcnt vmcnt(2)
	v_mul_f64 v[137:138], v[141:142], v[90:91]
	v_mul_f64 v[90:91], v[139:140], v[90:91]
	s_waitcnt vmcnt(1) lgkmcnt(2)
	v_mul_f64 v[227:228], v[211:212], v[94:95]
	v_fma_f64 v[165:166], v[165:166], v[68:69], -v[6:7]
	v_fma_f64 v[68:69], v[167:168], v[68:69], v[70:71]
	v_mul_f64 v[70:71], v[209:210], v[94:95]
	s_waitcnt vmcnt(0) lgkmcnt(1)
	v_mul_f64 v[94:95], v[215:216], v[98:99]
	v_mul_f64 v[98:99], v[213:214], v[98:99]
	v_fma_f64 v[121:122], v[121:122], v[12:13], v[14:15]
	v_fma_f64 v[74:75], v[143:144], v[64:65], -v[74:75]
	v_fma_f64 v[64:65], v[145:146], v[64:65], v[0:1]
	v_fma_f64 v[66:67], v[173:174], v[52:53], -v[66:67]
	;; [unrolled: 2-line block ×11, first 2 shown]
	v_fma_f64 v[28:29], v[195:196], v[28:29], v[30:31]
	v_lshlrev_b32_e32 v230, 4, v106
	v_fma_f64 v[30:31], v[100:101], v[76:77], -v[82:83]
	v_fma_f64 v[42:43], v[102:103], v[76:77], v[78:79]
	v_add_f64 v[102:103], v[119:120], v[131:132]
	v_fma_f64 v[125:126], v[125:126], v[8:9], v[10:11]
	v_fma_f64 v[62:63], v[201:202], v[84:85], -v[149:150]
	v_fma_f64 v[76:77], v[203:204], v[84:85], v[86:87]
	v_fma_f64 v[78:79], v[139:140], v[88:89], -v[137:138]
	v_fma_f64 v[82:83], v[141:142], v[88:89], v[90:91]
	ds_load_b128 v[0:3], v164 offset:1728
	ds_load_b128 v[4:7], v164 offset:3456
	;; [unrolled: 1-line block ×4, first 2 shown]
	v_lshlrev_b32_e32 v229, 4, v105
	v_add_f64 v[104:105], v[119:120], -v[131:132]
	v_fma_f64 v[86:87], v[213:214], v[96:97], -v[94:95]
	v_fma_f64 v[88:89], v[215:216], v[96:97], v[98:99]
	v_add_f64 v[106:107], v[121:122], v[20:21]
	v_add_f64 v[145:146], v[135:136], v[74:75]
	v_add_f64 v[143:144], v[72:73], v[64:65]
	v_add_f64 v[98:99], v[111:112], v[119:120]
	v_add_f64 v[119:120], v[121:122], -v[20:21]
	v_add_f64 v[129:130], v[80:81], v[68:69]
	s_waitcnt lgkmcnt(4)
	v_add_f64 v[94:95], v[217:218], v[115:116]
	v_fma_f64 v[84:85], v[209:210], v[92:93], -v[227:228]
	v_fma_f64 v[70:71], v[211:212], v[92:93], v[70:71]
	v_add_f64 v[90:91], v[115:116], v[123:124]
	v_add_f64 v[96:97], v[219:220], v[117:118]
	;; [unrolled: 1-line block ×6, first 2 shown]
	s_waitcnt lgkmcnt(3)
	v_add_f64 v[133:134], v[0:1], v[147:148]
	v_add_f64 v[139:140], v[127:128], v[135:136]
	;; [unrolled: 1-line block ×4, first 2 shown]
	s_waitcnt lgkmcnt(2)
	v_add_f64 v[162:163], v[6:7], v[36:37]
	v_add_f64 v[183:184], v[58:59], v[46:47]
	;; [unrolled: 1-line block ×4, first 2 shown]
	v_add_f64 v[135:136], v[135:136], -v[74:75]
	v_add_f64 v[72:73], v[72:73], -v[64:65]
	v_add_f64 v[137:138], v[2:3], v[80:81]
	v_fma_f64 v[102:103], v[102:103], -0.5, v[111:112]
	v_add_f64 v[92:93], v[117:118], v[125:126]
	v_add_f64 v[111:112], v[36:37], -v[48:49]
	v_add_f64 v[36:37], v[46:47], -v[26:27]
	v_add_f64 v[167:168], v[66:67], v[38:39]
	v_add_f64 v[169:170], v[52:53], v[32:33]
	v_add_f64 v[38:39], v[38:39], -v[50:51]
	v_add_f64 v[32:33], v[32:33], -v[56:57]
	v_add_f64 v[160:161], v[4:5], v[54:55]
	v_add_f64 v[185:186], v[22:23], v[18:19]
	;; [unrolled: 1-line block ×4, first 2 shown]
	v_fma_f64 v[106:107], v[106:107], -0.5, v[113:114]
	v_fma_f64 v[46:47], v[145:146], -0.5, v[127:128]
	v_fma_f64 v[16:17], v[143:144], -0.5, v[16:17]
	s_waitcnt lgkmcnt(0)
	v_add_f64 v[195:196], v[12:13], v[62:63]
	v_add_f64 v[18:19], v[18:19], -v[28:29]
	v_add_f64 v[179:180], v[8:9], v[60:61]
	v_add_f64 v[199:200], v[30:31], v[78:79]
	;; [unrolled: 1-line block ×3, first 2 shown]
	v_add_f64 v[78:79], v[78:79], -v[86:87]
	v_add_f64 v[82:83], v[82:83], -v[88:89]
	v_add_f64 v[181:182], v[10:11], v[44:45]
	v_fma_f64 v[66:67], v[173:174], -0.5, v[66:67]
	v_fma_f64 v[52:53], v[171:172], -0.5, v[52:53]
	;; [unrolled: 1-line block ×3, first 2 shown]
	v_add_f64 v[149:150], v[54:55], v[34:35]
	v_add_f64 v[197:198], v[14:15], v[76:77]
	;; [unrolled: 1-line block ×4, first 2 shown]
	v_add_f64 v[117:118], v[117:118], -v[125:126]
	v_add_f64 v[115:116], v[115:116], -v[123:124]
	v_fma_f64 v[90:91], v[90:91], -0.5, v[217:218]
	v_fma_f64 v[58:59], v[189:190], -0.5, v[58:59]
	;; [unrolled: 1-line block ×3, first 2 shown]
	v_add_f64 v[96:97], v[96:97], v[125:126]
	v_add_f64 v[20:21], v[100:101], v[20:21]
	v_fma_f64 v[100:101], v[121:122], -0.5, v[0:1]
	v_fma_f64 v[129:130], v[119:120], s[6:7], v[102:103]
	v_fma_f64 v[102:103], v[119:120], s[2:3], v[102:103]
	v_fma_f64 v[92:93], v[92:93], -0.5, v[219:220]
	v_add_f64 v[121:122], v[133:134], v[165:166]
	v_add_f64 v[177:178], v[44:45], v[24:25]
	;; [unrolled: 1-line block ×3, first 2 shown]
	v_add_f64 v[80:81], v[80:81], -v[68:69]
	v_add_f64 v[68:69], v[137:138], v[68:69]
	v_add_f64 v[64:65], v[141:142], v[64:65]
	v_add_f64 v[175:176], v[60:61], v[40:41]
	v_fma_f64 v[30:31], v[205:206], -0.5, v[30:31]
	v_fma_f64 v[42:43], v[203:204], -0.5, v[42:43]
	v_fma_f64 v[127:128], v[104:105], s[2:3], v[106:107]
	v_fma_f64 v[104:105], v[104:105], s[6:7], v[106:107]
	;; [unrolled: 1-line block ×6, first 2 shown]
	v_add_f64 v[191:192], v[62:63], v[84:85]
	v_add_f64 v[74:75], v[139:140], v[74:75]
	v_add_f64 v[54:55], v[54:55], -v[34:35]
	v_add_f64 v[62:63], v[62:63], -v[84:85]
	v_fma_f64 v[125:126], v[158:159], -0.5, v[6:7]
	v_fma_f64 v[143:144], v[32:33], s[6:7], v[66:67]
	v_fma_f64 v[141:142], v[38:39], s[2:3], v[52:53]
	;; [unrolled: 1-line block ×4, first 2 shown]
	v_add_f64 v[34:35], v[160:161], v[34:35]
	v_add_f64 v[48:49], v[162:163], v[48:49]
	;; [unrolled: 1-line block ×5, first 2 shown]
	v_add_f64 v[147:148], v[147:148], -v[165:166]
	v_fma_f64 v[158:159], v[18:19], s[6:7], v[58:59]
	v_fma_f64 v[84:85], v[36:37], s[2:3], v[22:23]
	;; [unrolled: 1-line block ×4, first 2 shown]
	v_add_f64 v[60:61], v[60:61], -v[40:41]
	v_add_f64 v[40:41], v[179:180], v[40:41]
	v_add_f64 v[135:136], v[183:184], v[26:27]
	;; [unrolled: 1-line block ×4, first 2 shown]
	v_add_f64 v[76:77], v[76:77], -v[70:71]
	v_fma_f64 v[123:124], v[149:150], -0.5, v[4:5]
	v_add_f64 v[70:71], v[197:198], v[70:71]
	v_add_f64 v[86:87], v[199:200], v[86:87]
	;; [unrolled: 1-line block ×4, first 2 shown]
	v_fma_f64 v[165:166], v[82:83], s[6:7], v[30:31]
	v_fma_f64 v[162:163], v[78:79], s[2:3], v[42:43]
	v_fma_f64 v[82:83], v[82:83], s[2:3], v[30:31]
	v_fma_f64 v[42:43], v[78:79], s[6:7], v[42:43]
	v_mul_f64 v[36:37], v[127:128], s[6:7]
	v_mul_f64 v[78:79], v[129:130], s[2:3]
	v_add_f64 v[4:5], v[94:95], -v[98:99]
	v_mul_f64 v[98:99], v[102:103], -0.5
	v_mul_f64 v[167:168], v[104:105], -0.5
	v_add_f64 v[2:3], v[96:97], v[20:21]
	v_add_f64 v[6:7], v[96:97], -v[20:21]
	v_fma_f64 v[94:95], v[117:118], s[6:7], v[90:91]
	v_fma_f64 v[96:97], v[115:116], s[2:3], v[92:93]
	;; [unrolled: 1-line block ×4, first 2 shown]
	v_mul_f64 v[115:116], v[131:132], s[6:7]
	v_mul_f64 v[117:118], v[133:134], s[2:3]
	v_mul_f64 v[169:170], v[46:47], -0.5
	v_mul_f64 v[171:172], v[72:73], -0.5
	v_fma_f64 v[119:120], v[177:178], -0.5, v[10:11]
	v_fma_f64 v[149:150], v[193:194], -0.5, v[14:15]
	v_add_f64 v[10:11], v[68:69], v[64:65]
	v_add_f64 v[14:15], v[68:69], -v[64:65]
	v_mul_f64 v[64:65], v[141:142], s[6:7]
	v_mul_f64 v[68:69], v[143:144], s[2:3]
	v_fma_f64 v[106:107], v[175:176], -0.5, v[8:9]
	v_fma_f64 v[145:146], v[191:192], -0.5, v[12:13]
	v_add_f64 v[8:9], v[121:122], v[74:75]
	v_add_f64 v[12:13], v[121:122], -v[74:75]
	v_mul_f64 v[74:75], v[66:67], -0.5
	v_mul_f64 v[121:122], v[52:53], -0.5
	v_add_f64 v[44:45], v[44:45], -v[24:25]
	v_add_f64 v[16:17], v[34:35], v[50:51]
	v_add_f64 v[18:19], v[48:49], v[56:57]
	v_add_f64 v[20:21], v[34:35], -v[50:51]
	v_add_f64 v[22:23], v[48:49], -v[56:57]
	v_mul_f64 v[48:49], v[84:85], s[6:7]
	v_mul_f64 v[50:51], v[158:159], s[2:3]
	v_mul_f64 v[56:57], v[58:59], -0.5
	v_mul_f64 v[173:174], v[160:161], -0.5
	v_add_f64 v[24:25], v[40:41], v[135:136]
	v_add_f64 v[28:29], v[40:41], -v[135:136]
	v_mul_f64 v[40:41], v[162:163], s[6:7]
	v_mul_f64 v[135:136], v[165:166], s[2:3]
	v_add_f64 v[26:27], v[137:138], v[139:140]
	v_add_f64 v[30:31], v[137:138], -v[139:140]
	v_mul_f64 v[137:138], v[82:83], -0.5
	v_mul_f64 v[139:140], v[42:43], -0.5
	v_fma_f64 v[129:130], v[129:130], 0.5, v[36:37]
	v_fma_f64 v[78:79], v[127:128], 0.5, v[78:79]
	v_add_f64 v[32:33], v[38:39], v[86:87]
	v_add_f64 v[34:35], v[70:71], v[88:89]
	v_add_f64 v[36:37], v[38:39], -v[86:87]
	v_add_f64 v[38:39], v[70:71], -v[88:89]
	v_fma_f64 v[70:71], v[104:105], s[6:7], v[98:99]
	v_fma_f64 v[86:87], v[102:103], s[2:3], v[167:168]
	v_fma_f64 v[88:89], v[80:81], s[6:7], v[100:101]
	v_fma_f64 v[98:99], v[147:148], s[2:3], v[113:114]
	v_fma_f64 v[102:103], v[133:134], 0.5, v[115:116]
	v_fma_f64 v[104:105], v[131:132], 0.5, v[117:118]
	v_fma_f64 v[80:81], v[80:81], s[2:3], v[100:101]
	v_fma_f64 v[100:101], v[147:148], s[6:7], v[113:114]
	v_fma_f64 v[72:73], v[72:73], s[6:7], v[169:170]
	v_fma_f64 v[113:114], v[46:47], s[2:3], v[171:172]
	v_fma_f64 v[115:116], v[111:112], s[6:7], v[123:124]
	v_fma_f64 v[117:118], v[54:55], s[2:3], v[125:126]
	v_fma_f64 v[127:128], v[143:144], 0.5, v[64:65]
	v_fma_f64 v[131:132], v[141:142], 0.5, v[68:69]
	v_fma_f64 v[111:112], v[111:112], s[2:3], v[123:124]
	v_fma_f64 v[123:124], v[54:55], s[6:7], v[125:126]
	;; [unrolled: 8-line block ×4, first 2 shown]
	v_fma_f64 v[137:138], v[42:43], s[6:7], v[137:138]
	v_fma_f64 v[139:140], v[82:83], s[2:3], v[139:140]
	v_add_f64 v[40:41], v[94:95], v[129:130]
	v_add_f64 v[42:43], v[96:97], v[78:79]
	v_add_f64 v[44:45], v[94:95], -v[129:130]
	v_add_f64 v[46:47], v[96:97], -v[78:79]
	v_add_f64 v[48:49], v[90:91], v[70:71]
	v_add_f64 v[50:51], v[92:93], v[86:87]
	v_add_f64 v[52:53], v[90:91], -v[70:71]
	v_add_f64 v[54:55], v[92:93], -v[86:87]
	;; [unrolled: 4-line block ×10, first 2 shown]
	v_add_co_u32 v123, s0, 0x2000, v109
	s_delay_alu instid0(VALU_DEP_1)
	v_add_co_ci_u32_e64 v124, s0, 0, v110, s0
	v_add3_u32 v125, 0, v156, v237
	v_add3_u32 v126, 0, v153, v238
	;; [unrolled: 1-line block ×4, first 2 shown]
	s_barrier
	buffer_gl0_inv
	ds_store_b128 v151, v[0:3]
	ds_store_b128 v151, v[40:43] offset:1440
	ds_store_b128 v151, v[48:51] offset:2880
	ds_store_b128 v151, v[4:7] offset:4320
	ds_store_b128 v151, v[44:47] offset:5760
	ds_store_b128 v151, v[52:55] offset:7200
	ds_store_b128 v125, v[8:11]
	ds_store_b128 v125, v[56:59] offset:1440
	ds_store_b128 v125, v[64:67] offset:2880
	ds_store_b128 v125, v[12:15] offset:4320
	ds_store_b128 v125, v[60:63] offset:5760
	ds_store_b128 v125, v[68:71] offset:7200
	;; [unrolled: 6-line block ×5, first 2 shown]
	v_add_co_u32 v0, s0, 0x2190, v109
	s_delay_alu instid0(VALU_DEP_1)
	v_add_co_ci_u32_e64 v1, s0, 0, v110, s0
	v_add_co_u32 v2, s0, 0x4000, v109
	s_waitcnt lgkmcnt(0)
	s_barrier
	buffer_gl0_inv
	s_clause 0x2
	global_load_b128 v[4:7], v[123:124], off offset:400
	global_load_b128 v[12:15], v[0:1], off offset:16
	;; [unrolled: 1-line block ×3, first 2 shown]
	v_add_co_ci_u32_e64 v3, s0, 0, v110, s0
	s_clause 0x1
	global_load_b128 v[16:19], v[0:1], off offset:48
	global_load_b128 v[20:23], v[123:124], off offset:464
	v_add_co_u32 v0, s0, 0x4350, v109
	s_delay_alu instid0(VALU_DEP_1)
	v_add_co_ci_u32_e64 v1, s0, 0, v110, s0
	s_clause 0x2
	global_load_b128 v[36:39], v[2:3], off offset:848
	global_load_b128 v[28:31], v[0:1], off offset:16
	;; [unrolled: 1-line block ×3, first 2 shown]
	v_add_co_u32 v40, s0, 0x6000, v109
	s_delay_alu instid0(VALU_DEP_1) | instskip(SKIP_1) | instid1(VALU_DEP_1)
	v_add_co_ci_u32_e64 v41, s0, 0, v110, s0
	v_add_co_u32 v42, s0, 0x6510, v109
	v_add_co_ci_u32_e64 v43, s0, 0, v110, s0
	s_clause 0x1
	global_load_b128 v[84:87], v[0:1], off offset:48
	global_load_b128 v[32:35], v[2:3], off offset:912
	v_add_co_u32 v0, s0, 0x8000, v109
	v_add_nc_u32_e32 v68, 0x8700, v108
	v_add_co_ci_u32_e64 v1, s0, 0, v110, s0
	v_add_co_u32 v2, s0, 0x86d0, v109
	s_delay_alu instid0(VALU_DEP_1) | instskip(NEXT) | instid1(VALU_DEP_4)
	v_add_co_ci_u32_e64 v3, s0, 0, v110, s0
	v_add_co_u32 v76, s0, s4, v68
	s_delay_alu instid0(VALU_DEP_1)
	v_add_co_ci_u32_e64 v77, null, s5, 0, s0
	s_clause 0x1
	global_load_b128 v[56:59], v[40:41], off offset:1296
	global_load_b128 v[48:51], v[42:43], off offset:16
	v_add_co_u32 v100, s0, 0x2000, v76
	s_clause 0x3
	global_load_b128 v[60:63], v[42:43], off offset:32
	global_load_b128 v[44:47], v[42:43], off offset:48
	;; [unrolled: 1-line block ×4, first 2 shown]
	v_add_co_ci_u32_e64 v101, s0, 0, v77, s0
	s_clause 0x3
	global_load_b128 v[68:71], v[2:3], off offset:16
	global_load_b128 v[40:43], v[2:3], off offset:32
	;; [unrolled: 1-line block ×4, first 2 shown]
	v_add_co_u32 v0, s0, 0x2190, v76
	s_delay_alu instid0(VALU_DEP_1)
	v_add_co_ci_u32_e64 v1, s0, 0, v77, s0
	s_clause 0x4
	global_load_b128 v[76:79], v[100:101], off offset:400
	global_load_b128 v[92:95], v[0:1], off offset:16
	;; [unrolled: 1-line block ×5, first 2 shown]
	ds_load_b128 v[158:161], v164 offset:8640
	ds_load_b128 v[165:168], v164 offset:17280
	;; [unrolled: 1-line block ×25, first 2 shown]
	ds_load_b128 v[0:3], v164
	s_waitcnt vmcnt(24) lgkmcnt(25)
	v_mul_f64 v[162:163], v[160:161], v[6:7]
	v_mul_f64 v[6:7], v[158:159], v[6:7]
	s_waitcnt vmcnt(23) lgkmcnt(24)
	v_mul_f64 v[213:214], v[167:168], v[14:15]
	s_waitcnt vmcnt(22) lgkmcnt(23)
	v_mul_f64 v[215:216], v[171:172], v[10:11]
	v_mul_f64 v[14:15], v[165:166], v[14:15]
	;; [unrolled: 1-line block ×3, first 2 shown]
	s_waitcnt vmcnt(21) lgkmcnt(19)
	v_mul_f64 v[217:218], v[183:184], v[18:19]
	v_mul_f64 v[18:19], v[181:182], v[18:19]
	s_waitcnt vmcnt(20) lgkmcnt(17)
	v_mul_f64 v[219:220], v[187:188], v[22:23]
	v_mul_f64 v[221:222], v[185:186], v[22:23]
	s_waitcnt vmcnt(19)
	v_mul_f64 v[223:224], v[175:176], v[38:39]
	v_mul_f64 v[225:226], v[173:174], v[38:39]
	s_waitcnt vmcnt(18) lgkmcnt(15)
	v_mul_f64 v[227:228], v[195:196], v[30:31]
	v_mul_f64 v[229:230], v[193:194], v[30:31]
	s_waitcnt vmcnt(17)
	v_mul_f64 v[231:232], v[179:180], v[26:27]
	v_mul_f64 v[233:234], v[177:178], v[26:27]
	s_waitcnt vmcnt(16) lgkmcnt(13)
	v_mul_f64 v[235:236], v[199:200], v[86:87]
	s_waitcnt vmcnt(15)
	v_mul_f64 v[239:240], v[191:192], v[34:35]
	v_mul_f64 v[241:242], v[189:190], v[34:35]
	v_mul_f64 v[237:238], v[197:198], v[86:87]
	s_waitcnt vmcnt(14) lgkmcnt(11)
	v_mul_f64 v[243:244], v[203:204], v[58:59]
	s_waitcnt vmcnt(13)
	v_mul_f64 v[245:246], v[132:133], v[50:51]
	s_waitcnt vmcnt(12) lgkmcnt(9)
	v_mul_f64 v[247:248], v[207:208], v[62:63]
	v_fma_f64 v[34:35], v[158:159], v[4:5], -v[162:163]
	v_fma_f64 v[38:39], v[160:161], v[4:5], v[6:7]
	v_mul_f64 v[160:161], v[201:202], v[58:59]
	v_mul_f64 v[162:163], v[134:135], v[50:51]
	v_fma_f64 v[50:51], v[165:166], v[12:13], -v[213:214]
	v_mul_f64 v[165:166], v[205:206], v[62:63]
	s_waitcnt vmcnt(10) lgkmcnt(7)
	v_mul_f64 v[249:250], v[142:143], v[66:67]
	v_fma_f64 v[158:159], v[169:170], v[8:9], -v[215:216]
	v_mul_f64 v[169:170], v[140:141], v[66:67]
	v_fma_f64 v[86:87], v[167:168], v[12:13], v[14:15]
	v_mul_f64 v[167:168], v[138:139], v[46:47]
	v_mul_f64 v[213:214], v[136:137], v[46:47]
	v_fma_f64 v[46:47], v[171:172], v[8:9], v[10:11]
	s_waitcnt vmcnt(9)
	v_mul_f64 v[171:172], v[122:123], v[54:55]
	v_mul_f64 v[215:216], v[120:121], v[54:55]
	s_waitcnt vmcnt(8) lgkmcnt(5)
	v_mul_f64 v[251:252], v[146:147], v[70:71]
	v_fma_f64 v[22:23], v[181:182], v[16:17], -v[217:218]
	v_fma_f64 v[26:27], v[183:184], v[16:17], v[18:19]
	v_mul_f64 v[181:182], v[144:145], v[70:71]
	s_waitcnt vmcnt(7)
	v_mul_f64 v[183:184], v[114:115], v[42:43]
	v_mul_f64 v[217:218], v[112:113], v[42:43]
	v_fma_f64 v[30:31], v[185:186], v[20:21], -v[219:220]
	v_fma_f64 v[20:21], v[187:188], v[20:21], v[221:222]
	s_waitcnt vmcnt(5)
	v_mul_f64 v[187:188], v[118:119], v[74:75]
	v_mul_f64 v[219:220], v[116:117], v[74:75]
	s_waitcnt lgkmcnt(3)
	v_mul_f64 v[253:254], v[150:151], v[82:83]
	v_mul_f64 v[185:186], v[148:149], v[82:83]
	s_waitcnt vmcnt(4)
	v_mul_f64 v[221:222], v[106:107], v[78:79]
	v_fma_f64 v[42:43], v[173:174], v[36:37], -v[223:224]
	v_fma_f64 v[36:37], v[175:176], v[36:37], v[225:226]
	v_mul_f64 v[173:174], v[104:105], v[78:79]
	s_waitcnt vmcnt(3)
	v_mul_f64 v[175:176], v[126:127], v[94:95]
	v_fma_f64 v[54:55], v[193:194], v[28:29], -v[227:228]
	v_fma_f64 v[58:59], v[195:196], v[28:29], v[229:230]
	s_waitcnt vmcnt(1)
	v_mul_f64 v[195:196], v[110:111], v[98:99]
	v_mul_f64 v[227:228], v[108:109], v[98:99]
	s_waitcnt vmcnt(0) lgkmcnt(1)
	v_mul_f64 v[229:230], v[211:212], v[102:103]
	v_fma_f64 v[66:67], v[177:178], v[24:25], -v[231:232]
	v_mul_f64 v[177:178], v[209:210], v[102:103]
	v_mul_f64 v[223:224], v[124:125], v[94:95]
	;; [unrolled: 1-line block ×3, first 2 shown]
	v_fma_f64 v[62:63], v[179:180], v[24:25], v[233:234]
	v_fma_f64 v[70:71], v[189:190], v[32:33], -v[239:240]
	v_fma_f64 v[32:33], v[191:192], v[32:33], v[241:242]
	v_fma_f64 v[94:95], v[203:204], v[56:57], v[160:161]
	v_fma_f64 v[132:133], v[132:133], v[48:49], -v[162:163]
	v_fma_f64 v[162:163], v[205:206], v[60:61], -v[247:248]
	v_fma_f64 v[160:161], v[207:208], v[60:61], v[165:166]
	v_fma_f64 v[74:75], v[140:141], v[64:65], -v[249:250]
	v_fma_f64 v[78:79], v[142:143], v[64:65], v[169:170]
	v_fma_f64 v[24:25], v[197:198], v[84:85], -v[235:236]
	v_fma_f64 v[28:29], v[199:200], v[84:85], v[237:238]
	v_fma_f64 v[82:83], v[136:137], v[44:45], -v[167:168]
	v_fma_f64 v[84:85], v[138:139], v[44:45], v[213:214]
	v_fma_f64 v[98:99], v[120:121], v[52:53], -v[171:172]
	v_fma_f64 v[102:103], v[122:123], v[52:53], v[215:216]
	v_fma_f64 v[120:121], v[144:145], v[68:69], -v[251:252]
	v_fma_f64 v[122:123], v[146:147], v[68:69], v[181:182]
	v_fma_f64 v[138:139], v[112:113], v[40:41], -v[183:184]
	v_fma_f64 v[136:137], v[114:115], v[40:41], v[217:218]
	v_mul_f64 v[193:194], v[128:129], v[90:91]
	v_fma_f64 v[64:65], v[116:117], v[72:73], -v[187:188]
	v_fma_f64 v[68:69], v[118:119], v[72:73], v[219:220]
	v_fma_f64 v[90:91], v[201:202], v[56:57], -v[243:244]
	v_fma_f64 v[134:135], v[134:135], v[48:49], v[245:246]
	;; [unrolled: 2-line block ×4, first 2 shown]
	v_fma_f64 v[80:81], v[124:125], v[92:93], -v[175:176]
	v_add_f64 v[114:115], v[86:87], v[26:27]
	ds_load_b128 v[8:11], v164 offset:1728
	ds_load_b128 v[4:7], v164 offset:3456
	v_fma_f64 v[124:125], v[108:109], v[96:97], -v[195:196]
	v_fma_f64 v[106:107], v[110:111], v[96:97], v[227:228]
	v_fma_f64 v[48:49], v[209:210], v[100:101], -v[229:230]
	v_add_f64 v[110:111], v[50:51], v[22:23]
	v_fma_f64 v[52:53], v[211:212], v[100:101], v[177:178]
	v_fma_f64 v[92:93], v[126:127], v[92:93], v[223:224]
	v_fma_f64 v[40:41], v[128:129], v[88:89], -v[225:226]
	v_add_f64 v[126:127], v[46:47], v[20:21]
	v_add_f64 v[128:129], v[158:159], v[30:31]
	;; [unrolled: 1-line block ×4, first 2 shown]
	ds_load_b128 v[16:19], v164 offset:5184
	ds_load_b128 v[12:15], v164 offset:6912
	v_add_f64 v[116:117], v[34:35], v[158:159]
	v_add_f64 v[118:119], v[38:39], v[46:47]
	;; [unrolled: 1-line block ×6, first 2 shown]
	s_waitcnt lgkmcnt(3)
	v_add_f64 v[100:101], v[10:11], v[58:59]
	v_add_f64 v[158:159], v[158:159], -v[30:31]
	v_add_f64 v[46:47], v[46:47], -v[20:21]
	v_add_f64 v[108:109], v[0:1], v[50:51]
	v_add_f64 v[140:141], v[36:37], v[62:63]
	v_add_f64 v[62:63], v[62:63], -v[32:33]
	v_add_f64 v[112:113], v[2:3], v[86:87]
	s_waitcnt lgkmcnt(2)
	v_add_f64 v[146:147], v[4:5], v[132:133]
	v_fma_f64 v[44:45], v[130:131], v[88:89], v[193:194]
	v_add_f64 v[197:198], v[138:139], v[64:65]
	v_add_f64 v[195:196], v[136:137], v[68:69]
	;; [unrolled: 1-line block ×4, first 2 shown]
	v_add_f64 v[66:67], v[66:67], -v[70:71]
	v_add_f64 v[144:145], v[134:135], v[84:85]
	v_add_f64 v[148:149], v[6:7], v[134:135]
	;; [unrolled: 1-line block ×6, first 2 shown]
	s_waitcnt lgkmcnt(1)
	v_add_f64 v[175:176], v[16:17], v[120:121]
	v_add_f64 v[177:178], v[18:19], v[122:123]
	;; [unrolled: 1-line block ×3, first 2 shown]
	v_add_f64 v[138:139], v[138:139], -v[64:65]
	v_add_f64 v[203:204], v[106:107], v[52:53]
	v_add_f64 v[136:137], v[136:137], -v[68:69]
	v_fma_f64 v[110:111], v[110:111], -0.5, v[0:1]
	v_fma_f64 v[38:39], v[126:127], -0.5, v[38:39]
	;; [unrolled: 1-line block ×5, first 2 shown]
	v_add_f64 v[126:127], v[162:163], -v[74:75]
	v_add_f64 v[128:129], v[134:135], -v[84:85]
	;; [unrolled: 1-line block ×3, first 2 shown]
	v_fma_f64 v[90:91], v[181:182], -0.5, v[90:91]
	v_fma_f64 v[94:95], v[179:180], -0.5, v[94:95]
	;; [unrolled: 1-line block ×3, first 2 shown]
	v_add_f64 v[199:200], v[72:73], v[124:125]
	v_add_f64 v[201:202], v[76:77], v[106:107]
	v_add_f64 v[124:125], v[124:125], -v[48:49]
	v_add_f64 v[106:107], v[106:107], -v[52:53]
	v_fma_f64 v[96:97], v[96:97], -0.5, v[8:9]
	v_add_f64 v[142:143], v[132:133], v[82:83]
	v_add_f64 v[58:59], v[58:59], -v[28:29]
	v_add_f64 v[54:55], v[54:55], -v[24:25]
	v_add_f64 v[28:29], v[100:101], v[28:29]
	v_add_f64 v[187:188], v[80:81], v[40:41]
	v_fma_f64 v[2:3], v[197:198], -0.5, v[98:99]
	v_fma_f64 v[0:1], v[195:196], -0.5, v[102:103]
	;; [unrolled: 1-line block ×3, first 2 shown]
	v_add_f64 v[24:25], v[88:89], v[24:25]
	v_add_f64 v[189:190], v[92:93], v[44:45]
	v_add_f64 v[50:51], v[50:51], -v[22:23]
	v_add_f64 v[22:23], v[108:109], v[22:23]
	v_add_f64 v[70:71], v[130:131], v[70:71]
	;; [unrolled: 1-line block ×5, first 2 shown]
	v_add_f64 v[86:87], v[86:87], -v[26:27]
	v_add_f64 v[132:133], v[132:133], -v[82:83]
	v_fma_f64 v[10:11], v[205:206], -0.5, v[72:73]
	v_add_f64 v[26:27], v[112:113], v[26:27]
	v_fma_f64 v[8:9], v[203:204], -0.5, v[76:77]
	v_add_f64 v[30:31], v[116:117], v[30:31]
	v_add_f64 v[20:21], v[118:119], v[20:21]
	v_fma_f64 v[88:89], v[158:159], s[2:3], v[38:39]
	v_fma_f64 v[100:101], v[46:47], s[6:7], v[34:35]
	;; [unrolled: 1-line block ×8, first 2 shown]
	v_add_f64 v[82:83], v[146:147], v[82:83]
	v_add_f64 v[84:85], v[148:149], v[84:85]
	;; [unrolled: 1-line block ×6, first 2 shown]
	v_fma_f64 v[66:67], v[126:127], s[2:3], v[94:95]
	v_fma_f64 v[68:69], v[134:135], s[6:7], v[90:91]
	;; [unrolled: 1-line block ×4, first 2 shown]
	v_add_f64 v[122:123], v[122:123], -v[60:61]
	v_add_f64 v[120:121], v[120:121], -v[56:57]
	v_add_f64 v[56:57], v[175:176], v[56:57]
	v_add_f64 v[60:61], v[177:178], v[60:61]
	v_fma_f64 v[118:119], v[138:139], s[2:3], v[0:1]
	v_fma_f64 v[126:127], v[136:137], s[6:7], v[2:3]
	;; [unrolled: 1-line block ×4, first 2 shown]
	s_waitcnt lgkmcnt(0)
	v_add_f64 v[191:192], v[12:13], v[80:81]
	v_add_f64 v[193:194], v[14:15], v[92:93]
	v_fma_f64 v[72:73], v[142:143], -0.5, v[4:5]
	v_fma_f64 v[76:77], v[144:145], -0.5, v[6:7]
	v_fma_f64 v[112:113], v[187:188], -0.5, v[12:13]
	v_fma_f64 v[116:117], v[189:190], -0.5, v[14:15]
	v_add_f64 v[12:13], v[24:25], -v[70:71]
	v_fma_f64 v[138:139], v[106:107], s[6:7], v[10:11]
	v_fma_f64 v[106:107], v[106:107], s[2:3], v[10:11]
	;; [unrolled: 1-line block ×4, first 2 shown]
	v_add_f64 v[8:9], v[24:25], v[70:71]
	v_mul_f64 v[140:141], v[88:89], s[6:7]
	v_mul_f64 v[142:143], v[100:101], s[2:3]
	v_add_f64 v[10:11], v[28:29], v[32:33]
	v_mul_f64 v[144:145], v[34:35], -0.5
	v_mul_f64 v[146:147], v[38:39], -0.5
	v_add_f64 v[14:15], v[28:29], -v[32:33]
	v_mul_f64 v[32:33], v[104:105], s[6:7]
	v_mul_f64 v[70:71], v[108:109], s[2:3]
	v_mul_f64 v[148:149], v[42:43], -0.5
	v_mul_f64 v[150:151], v[36:37], -0.5
	v_fma_f64 v[46:47], v[171:172], -0.5, v[16:17]
	v_fma_f64 v[102:103], v[173:174], -0.5, v[18:19]
	v_add_f64 v[0:1], v[22:23], v[30:31]
	v_add_f64 v[2:3], v[26:27], v[20:21]
	v_add_f64 v[4:5], v[22:23], -v[30:31]
	v_add_f64 v[6:7], v[26:27], -v[20:21]
	v_add_f64 v[16:17], v[82:83], v[74:75]
	v_add_f64 v[18:19], v[84:85], v[78:79]
	v_add_f64 v[20:21], v[82:83], -v[74:75]
	v_add_f64 v[22:23], v[84:85], -v[78:79]
	v_mul_f64 v[82:83], v[90:91], -0.5
	v_mul_f64 v[84:85], v[94:95], -0.5
	v_mul_f64 v[74:75], v[66:67], s[6:7]
	v_mul_f64 v[78:79], v[68:69], s[2:3]
	v_add_f64 v[24:25], v[56:57], v[62:63]
	v_add_f64 v[26:27], v[60:61], v[64:65]
	v_add_f64 v[28:29], v[56:57], -v[62:63]
	v_add_f64 v[30:31], v[60:61], -v[64:65]
	v_mul_f64 v[56:57], v[118:119], s[6:7]
	v_mul_f64 v[60:61], v[126:127], s[2:3]
	v_mul_f64 v[62:63], v[130:131], -0.5
	v_mul_f64 v[64:65], v[134:135], -0.5
	v_add_f64 v[92:93], v[92:93], -v[44:45]
	v_add_f64 v[80:81], v[80:81], -v[40:41]
	v_mul_f64 v[165:166], v[138:139], s[2:3]
	v_mul_f64 v[162:163], v[136:137], s[6:7]
	v_mul_f64 v[167:168], v[106:107], -0.5
	v_mul_f64 v[169:170], v[124:125], -0.5
	v_add_f64 v[40:41], v[191:192], v[40:41]
	v_add_f64 v[44:45], v[193:194], v[44:45]
	;; [unrolled: 1-line block ×4, first 2 shown]
	v_fma_f64 v[158:159], v[86:87], s[6:7], v[110:111]
	v_fma_f64 v[160:161], v[50:51], s[2:3], v[114:115]
	;; [unrolled: 1-line block ×4, first 2 shown]
	v_fma_f64 v[50:51], v[100:101], 0.5, v[140:141]
	v_fma_f64 v[88:89], v[88:89], 0.5, v[142:143]
	v_fma_f64 v[114:115], v[58:59], s[6:7], v[96:97]
	v_fma_f64 v[171:172], v[54:55], s[2:3], v[98:99]
	;; [unrolled: 1-line block ×6, first 2 shown]
	v_fma_f64 v[108:109], v[108:109], 0.5, v[32:33]
	v_fma_f64 v[70:71], v[104:105], 0.5, v[70:71]
	v_fma_f64 v[100:101], v[128:129], s[6:7], v[72:73]
	v_fma_f64 v[140:141], v[132:133], s[2:3], v[76:77]
	;; [unrolled: 1-line block ×8, first 2 shown]
	v_fma_f64 v[144:145], v[68:69], 0.5, v[74:75]
	v_fma_f64 v[78:79], v[66:67], 0.5, v[78:79]
	v_fma_f64 v[132:133], v[122:123], s[6:7], v[46:47]
	v_fma_f64 v[142:143], v[120:121], s[2:3], v[102:103]
	v_fma_f64 v[126:127], v[126:127], 0.5, v[56:57]
	v_fma_f64 v[118:119], v[118:119], 0.5, v[60:61]
	v_fma_f64 v[122:123], v[122:123], s[2:3], v[46:47]
	v_fma_f64 v[102:103], v[120:121], s[6:7], v[102:103]
	;; [unrolled: 1-line block ×8, first 2 shown]
	v_fma_f64 v[112:113], v[138:139], 0.5, v[162:163]
	v_fma_f64 v[116:117], v[136:137], 0.5, v[165:166]
	v_fma_f64 v[124:125], v[124:125], s[6:7], v[167:168]
	v_fma_f64 v[136:137], v[106:107], s[2:3], v[169:170]
	v_add_f64 v[32:33], v[40:41], v[48:49]
	v_add_f64 v[34:35], v[44:45], v[52:53]
	v_add_f64 v[36:37], v[40:41], -v[48:49]
	v_add_f64 v[40:41], v[158:159], v[50:51]
	v_add_f64 v[42:43], v[160:161], v[88:89]
	v_add_f64 v[38:39], v[44:45], -v[52:53]
	v_add_f64 v[44:45], v[158:159], -v[50:51]
	;; [unrolled: 1-line block ×3, first 2 shown]
	v_add_f64 v[48:49], v[86:87], v[54:55]
	v_add_f64 v[50:51], v[110:111], v[58:59]
	v_add_f64 v[52:53], v[86:87], -v[54:55]
	v_add_f64 v[54:55], v[110:111], -v[58:59]
	v_add_f64 v[56:57], v[114:115], v[108:109]
	v_add_f64 v[58:59], v[171:172], v[70:71]
	v_add_f64 v[62:63], v[171:172], -v[70:71]
	v_add_f64 v[60:61], v[114:115], -v[108:109]
	;; [unrolled: 1-line block ×4, first 2 shown]
	v_add_f64 v[64:65], v[96:97], v[72:73]
	v_add_f64 v[66:67], v[98:99], v[76:77]
	;; [unrolled: 1-line block ×5, first 2 shown]
	v_add_f64 v[76:77], v[100:101], -v[144:145]
	v_add_f64 v[78:79], v[140:141], -v[78:79]
	v_add_f64 v[72:73], v[100:101], v[144:145]
	v_add_f64 v[86:87], v[128:129], -v[90:91]
	v_add_f64 v[88:89], v[132:133], v[126:127]
	v_add_f64 v[90:91], v[142:143], v[118:119]
	v_add_f64 v[84:85], v[104:105], -v[94:95]
	v_add_f64 v[96:97], v[122:123], -v[134:135]
	;; [unrolled: 1-line block ×3, first 2 shown]
	v_add_f64 v[94:95], v[102:103], v[130:131]
	v_add_f64 v[92:93], v[122:123], v[134:135]
	;; [unrolled: 1-line block ×6, first 2 shown]
	v_add_f64 v[108:109], v[132:133], -v[126:127]
	v_add_f64 v[110:111], v[142:143], -v[118:119]
	;; [unrolled: 1-line block ×6, first 2 shown]
	s_barrier
	buffer_gl0_inv
	ds_store_b128 v164, v[4:7] offset:25920
	ds_store_b128 v164, v[12:15] offset:27648
	;; [unrolled: 1-line block ×28, first 2 shown]
	ds_store_b128 v164, v[0:3]
	ds_store_b128 v164, v[116:119] offset:50112
	s_waitcnt lgkmcnt(0)
	s_barrier
	buffer_gl0_inv
	s_and_saveexec_b32 s0, vcc_lo
	s_cbranch_execz .LBB0_19
; %bb.18:
	scratch_load_b64 v[6:7], off, off       ; 8-byte Folded Reload
	v_dual_mov_b32 v153, v157 :: v_dual_add_nc_u32 v156, 0x6c, v152
	v_lshl_add_u32 v32, v152, 4, 0
	s_delay_alu instid0(VALU_DEP_2) | instskip(NEXT) | instid1(VALU_DEP_3)
	v_lshlrev_b64 v[4:5], 4, v[152:153]
	v_lshlrev_b64 v[16:17], 4, v[156:157]
	v_add_nc_u32_e32 v156, 0xd8, v152
	ds_load_b128 v[0:3], v32
	v_lshlrev_b64 v[18:19], 4, v[156:157]
	v_add_nc_u32_e32 v156, 0x144, v152
	s_waitcnt vmcnt(0)
	v_add_co_u32 v36, vcc_lo, s8, v6
	v_add_co_ci_u32_e32 v37, vcc_lo, s9, v7, vcc_lo
	s_delay_alu instid0(VALU_DEP_2) | instskip(NEXT) | instid1(VALU_DEP_2)
	v_add_co_u32 v20, vcc_lo, v36, v4
	v_add_co_ci_u32_e32 v21, vcc_lo, v37, v5, vcc_lo
	ds_load_b128 v[4:7], v32 offset:1728
	ds_load_b128 v[8:11], v32 offset:3456
	;; [unrolled: 1-line block ×3, first 2 shown]
	v_add_co_u32 v22, vcc_lo, v36, v16
	v_add_co_ci_u32_e32 v23, vcc_lo, v37, v17, vcc_lo
	v_lshlrev_b64 v[16:17], 4, v[156:157]
	v_add_nc_u32_e32 v156, 0x1b0, v152
	v_add_co_u32 v24, vcc_lo, v36, v18
	v_add_co_ci_u32_e32 v25, vcc_lo, v37, v19, vcc_lo
	s_delay_alu instid0(VALU_DEP_4) | instskip(NEXT) | instid1(VALU_DEP_4)
	v_add_co_u32 v26, vcc_lo, v36, v16
	v_lshlrev_b64 v[28:29], 4, v[156:157]
	v_add_nc_u32_e32 v156, 0x21c, v152
	v_add_co_ci_u32_e32 v27, vcc_lo, v37, v17, vcc_lo
	ds_load_b128 v[16:19], v32 offset:50112
	s_waitcnt lgkmcnt(4)
	global_store_b128 v[20:21], v[0:3], off
	s_waitcnt lgkmcnt(3)
	global_store_b128 v[22:23], v[4:7], off
	v_lshlrev_b64 v[20:21], 4, v[156:157]
	v_add_nc_u32_e32 v156, 0x288, v152
	ds_load_b128 v[0:3], v32 offset:6912
	s_waitcnt lgkmcnt(3)
	global_store_b128 v[24:25], v[8:11], off
	s_waitcnt lgkmcnt(2)
	global_store_b128 v[26:27], v[12:15], off
	ds_load_b128 v[4:7], v32 offset:8640
	ds_load_b128 v[8:11], v32 offset:10368
	;; [unrolled: 1-line block ×3, first 2 shown]
	v_lshlrev_b64 v[24:25], 4, v[156:157]
	v_add_nc_u32_e32 v156, 0x2f4, v152
	v_add_co_u32 v22, vcc_lo, v36, v28
	v_add_co_ci_u32_e32 v23, vcc_lo, v37, v29, vcc_lo
	v_add_co_u32 v20, vcc_lo, v36, v20
	s_delay_alu instid0(VALU_DEP_4)
	v_lshlrev_b64 v[26:27], 4, v[156:157]
	v_add_nc_u32_e32 v156, 0x360, v152
	v_add_co_ci_u32_e32 v21, vcc_lo, v37, v21, vcc_lo
	v_add_co_u32 v24, vcc_lo, v36, v24
	v_add_co_ci_u32_e32 v25, vcc_lo, v37, v25, vcc_lo
	v_add_co_u32 v26, vcc_lo, v36, v26
	v_lshlrev_b64 v[28:29], 4, v[156:157]
	v_add_nc_u32_e32 v156, 0x3cc, v152
	v_add_co_ci_u32_e32 v27, vcc_lo, v37, v27, vcc_lo
	s_waitcnt lgkmcnt(3)
	global_store_b128 v[22:23], v[0:3], off
	s_waitcnt lgkmcnt(2)
	global_store_b128 v[20:21], v[4:7], off
	ds_load_b128 v[0:3], v32 offset:13824
	v_lshlrev_b64 v[20:21], 4, v[156:157]
	v_add_nc_u32_e32 v156, 0x438, v152
	s_waitcnt lgkmcnt(2)
	global_store_b128 v[24:25], v[8:11], off
	s_waitcnt lgkmcnt(1)
	global_store_b128 v[26:27], v[12:15], off
	ds_load_b128 v[4:7], v32 offset:15552
	ds_load_b128 v[8:11], v32 offset:17280
	ds_load_b128 v[12:15], v32 offset:19008
	v_add_co_u32 v22, vcc_lo, v36, v28
	v_lshlrev_b64 v[24:25], 4, v[156:157]
	v_add_nc_u32_e32 v156, 0x4a4, v152
	v_add_co_ci_u32_e32 v23, vcc_lo, v37, v29, vcc_lo
	v_add_co_u32 v20, vcc_lo, v36, v20
	s_delay_alu instid0(VALU_DEP_3)
	v_lshlrev_b64 v[26:27], 4, v[156:157]
	v_add_nc_u32_e32 v156, 0x510, v152
	v_add_co_ci_u32_e32 v21, vcc_lo, v37, v21, vcc_lo
	v_add_co_u32 v24, vcc_lo, v36, v24
	v_add_co_ci_u32_e32 v25, vcc_lo, v37, v25, vcc_lo
	v_add_co_u32 v26, vcc_lo, v36, v26
	v_lshlrev_b64 v[28:29], 4, v[156:157]
	v_add_nc_u32_e32 v156, 0x57c, v152
	v_add_co_ci_u32_e32 v27, vcc_lo, v37, v27, vcc_lo
	s_waitcnt lgkmcnt(3)
	global_store_b128 v[22:23], v[0:3], off
	s_waitcnt lgkmcnt(2)
	global_store_b128 v[20:21], v[4:7], off
	ds_load_b128 v[0:3], v32 offset:20736
	v_lshlrev_b64 v[20:21], 4, v[156:157]
	v_add_nc_u32_e32 v156, 0x5e8, v152
	s_waitcnt lgkmcnt(2)
	global_store_b128 v[24:25], v[8:11], off
	s_waitcnt lgkmcnt(1)
	global_store_b128 v[26:27], v[12:15], off
	ds_load_b128 v[4:7], v32 offset:22464
	ds_load_b128 v[8:11], v32 offset:24192
	ds_load_b128 v[12:15], v32 offset:25920
	v_add_co_u32 v22, vcc_lo, v36, v28
	v_lshlrev_b64 v[24:25], 4, v[156:157]
	v_add_nc_u32_e32 v156, 0x654, v152
	v_add_co_ci_u32_e32 v23, vcc_lo, v37, v29, vcc_lo
	v_add_co_u32 v20, vcc_lo, v36, v20
	s_delay_alu instid0(VALU_DEP_3)
	;; [unrolled: 29-line block ×3, first 2 shown]
	v_lshlrev_b64 v[26:27], 4, v[156:157]
	v_add_co_ci_u32_e32 v21, vcc_lo, v37, v21, vcc_lo
	v_add_nc_u32_e32 v156, 0x870, v152
	v_add_co_u32 v24, vcc_lo, v36, v24
	v_add_co_ci_u32_e32 v25, vcc_lo, v37, v25, vcc_lo
	v_add_co_u32 v26, vcc_lo, v36, v26
	s_delay_alu instid0(VALU_DEP_4)
	v_lshlrev_b64 v[28:29], 4, v[156:157]
	v_add_nc_u32_e32 v156, 0x8dc, v152
	v_add_co_ci_u32_e32 v27, vcc_lo, v37, v27, vcc_lo
	s_waitcnt lgkmcnt(3)
	global_store_b128 v[22:23], v[0:3], off
	s_waitcnt lgkmcnt(2)
	global_store_b128 v[20:21], v[4:7], off
	ds_load_b128 v[0:3], v32 offset:34560
	s_waitcnt lgkmcnt(2)
	global_store_b128 v[24:25], v[8:11], off
	s_waitcnt lgkmcnt(1)
	global_store_b128 v[26:27], v[12:15], off
	v_lshlrev_b64 v[20:21], 4, v[156:157]
	v_add_nc_u32_e32 v156, 0x948, v152
	ds_load_b128 v[4:7], v32 offset:36288
	ds_load_b128 v[8:11], v32 offset:38016
	;; [unrolled: 1-line block ×3, first 2 shown]
	v_add_co_u32 v22, vcc_lo, v36, v28
	v_lshlrev_b64 v[24:25], 4, v[156:157]
	v_add_nc_u32_e32 v156, 0x9b4, v152
	v_add_co_ci_u32_e32 v23, vcc_lo, v37, v29, vcc_lo
	v_add_co_u32 v20, vcc_lo, v36, v20
	s_delay_alu instid0(VALU_DEP_3) | instskip(SKIP_3) | instid1(VALU_DEP_3)
	v_lshlrev_b64 v[26:27], 4, v[156:157]
	v_add_nc_u32_e32 v156, 0xa20, v152
	v_add_co_ci_u32_e32 v21, vcc_lo, v37, v21, vcc_lo
	v_add_co_u32 v24, vcc_lo, v36, v24
	v_lshlrev_b64 v[28:29], 4, v[156:157]
	v_add_nc_u32_e32 v156, 0xa8c, v152
	v_add_co_ci_u32_e32 v25, vcc_lo, v37, v25, vcc_lo
	v_add_co_u32 v26, vcc_lo, v36, v26
	s_waitcnt lgkmcnt(3)
	global_store_b128 v[22:23], v[0:3], off
	s_waitcnt lgkmcnt(2)
	global_store_b128 v[20:21], v[4:7], off
	v_lshlrev_b64 v[4:5], 4, v[156:157]
	v_add_nc_u32_e32 v156, 0xaf8, v152
	v_add_co_ci_u32_e32 v27, vcc_lo, v37, v27, vcc_lo
	ds_load_b128 v[0:3], v32 offset:41472
	s_waitcnt lgkmcnt(2)
	global_store_b128 v[24:25], v[8:11], off
	s_waitcnt lgkmcnt(1)
	global_store_b128 v[26:27], v[12:15], off
	v_add_co_u32 v24, vcc_lo, v36, v28
	v_lshlrev_b64 v[12:13], 4, v[156:157]
	v_add_co_ci_u32_e32 v25, vcc_lo, v37, v29, vcc_lo
	v_add_co_u32 v26, vcc_lo, v36, v4
	v_add_nc_u32_e32 v156, 0xb64, v152
	v_add_co_ci_u32_e32 v27, vcc_lo, v37, v5, vcc_lo
	v_add_co_u32 v30, vcc_lo, v36, v12
	ds_load_b128 v[4:7], v32 offset:43200
	ds_load_b128 v[8:11], v32 offset:44928
	v_add_co_ci_u32_e32 v31, vcc_lo, v37, v13, vcc_lo
	ds_load_b128 v[12:15], v32 offset:46656
	ds_load_b128 v[20:23], v32 offset:48384
	v_lshlrev_b64 v[28:29], 4, v[156:157]
	v_add_nc_u32_e32 v156, 0xbd0, v152
	s_delay_alu instid0(VALU_DEP_1) | instskip(SKIP_1) | instid1(VALU_DEP_4)
	v_lshlrev_b64 v[32:33], 4, v[156:157]
	v_add_nc_u32_e32 v156, 0xc3c, v152
	v_add_co_u32 v28, vcc_lo, v36, v28
	v_add_co_ci_u32_e32 v29, vcc_lo, v37, v29, vcc_lo
	s_delay_alu instid0(VALU_DEP_3) | instskip(SKIP_2) | instid1(VALU_DEP_3)
	v_lshlrev_b64 v[34:35], 4, v[156:157]
	v_add_co_u32 v32, vcc_lo, v36, v32
	v_add_co_ci_u32_e32 v33, vcc_lo, v37, v33, vcc_lo
	v_add_co_u32 v34, vcc_lo, v36, v34
	s_delay_alu instid0(VALU_DEP_4)
	v_add_co_ci_u32_e32 v35, vcc_lo, v37, v35, vcc_lo
	s_waitcnt lgkmcnt(4)
	global_store_b128 v[24:25], v[0:3], off
	s_waitcnt lgkmcnt(3)
	global_store_b128 v[26:27], v[4:7], off
	;; [unrolled: 2-line block ×4, first 2 shown]
	s_waitcnt lgkmcnt(0)
	s_clause 0x1
	global_store_b128 v[32:33], v[20:23], off
	global_store_b128 v[34:35], v[16:19], off
.LBB0_19:
	s_nop 0
	s_sendmsg sendmsg(MSG_DEALLOC_VGPRS)
	s_endpgm
	.section	.rodata,"a",@progbits
	.p2align	6, 0x0
	.amdhsa_kernel fft_rtc_fwd_len3240_factors_3_3_10_6_6_wgs_108_tpt_108_halfLds_dp_ip_CI_unitstride_sbrr_C2R_dirReg
		.amdhsa_group_segment_fixed_size 0
		.amdhsa_private_segment_fixed_size 12
		.amdhsa_kernarg_size 88
		.amdhsa_user_sgpr_count 15
		.amdhsa_user_sgpr_dispatch_ptr 0
		.amdhsa_user_sgpr_queue_ptr 0
		.amdhsa_user_sgpr_kernarg_segment_ptr 1
		.amdhsa_user_sgpr_dispatch_id 0
		.amdhsa_user_sgpr_private_segment_size 0
		.amdhsa_wavefront_size32 1
		.amdhsa_uses_dynamic_stack 0
		.amdhsa_enable_private_segment 1
		.amdhsa_system_sgpr_workgroup_id_x 1
		.amdhsa_system_sgpr_workgroup_id_y 0
		.amdhsa_system_sgpr_workgroup_id_z 0
		.amdhsa_system_sgpr_workgroup_info 0
		.amdhsa_system_vgpr_workitem_id 0
		.amdhsa_next_free_vgpr 256
		.amdhsa_next_free_sgpr 22
		.amdhsa_reserve_vcc 1
		.amdhsa_float_round_mode_32 0
		.amdhsa_float_round_mode_16_64 0
		.amdhsa_float_denorm_mode_32 3
		.amdhsa_float_denorm_mode_16_64 3
		.amdhsa_dx10_clamp 1
		.amdhsa_ieee_mode 1
		.amdhsa_fp16_overflow 0
		.amdhsa_workgroup_processor_mode 1
		.amdhsa_memory_ordered 1
		.amdhsa_forward_progress 0
		.amdhsa_shared_vgpr_count 0
		.amdhsa_exception_fp_ieee_invalid_op 0
		.amdhsa_exception_fp_denorm_src 0
		.amdhsa_exception_fp_ieee_div_zero 0
		.amdhsa_exception_fp_ieee_overflow 0
		.amdhsa_exception_fp_ieee_underflow 0
		.amdhsa_exception_fp_ieee_inexact 0
		.amdhsa_exception_int_div_zero 0
	.end_amdhsa_kernel
	.text
.Lfunc_end0:
	.size	fft_rtc_fwd_len3240_factors_3_3_10_6_6_wgs_108_tpt_108_halfLds_dp_ip_CI_unitstride_sbrr_C2R_dirReg, .Lfunc_end0-fft_rtc_fwd_len3240_factors_3_3_10_6_6_wgs_108_tpt_108_halfLds_dp_ip_CI_unitstride_sbrr_C2R_dirReg
                                        ; -- End function
	.section	.AMDGPU.csdata,"",@progbits
; Kernel info:
; codeLenInByte = 25148
; NumSgprs: 24
; NumVgprs: 256
; ScratchSize: 12
; MemoryBound: 0
; FloatMode: 240
; IeeeMode: 1
; LDSByteSize: 0 bytes/workgroup (compile time only)
; SGPRBlocks: 2
; VGPRBlocks: 31
; NumSGPRsForWavesPerEU: 24
; NumVGPRsForWavesPerEU: 256
; Occupancy: 5
; WaveLimiterHint : 1
; COMPUTE_PGM_RSRC2:SCRATCH_EN: 1
; COMPUTE_PGM_RSRC2:USER_SGPR: 15
; COMPUTE_PGM_RSRC2:TRAP_HANDLER: 0
; COMPUTE_PGM_RSRC2:TGID_X_EN: 1
; COMPUTE_PGM_RSRC2:TGID_Y_EN: 0
; COMPUTE_PGM_RSRC2:TGID_Z_EN: 0
; COMPUTE_PGM_RSRC2:TIDIG_COMP_CNT: 0
	.text
	.p2alignl 7, 3214868480
	.fill 96, 4, 3214868480
	.type	__hip_cuid_ff60e348f7e7385c,@object ; @__hip_cuid_ff60e348f7e7385c
	.section	.bss,"aw",@nobits
	.globl	__hip_cuid_ff60e348f7e7385c
__hip_cuid_ff60e348f7e7385c:
	.byte	0                               ; 0x0
	.size	__hip_cuid_ff60e348f7e7385c, 1

	.ident	"AMD clang version 19.0.0git (https://github.com/RadeonOpenCompute/llvm-project roc-6.4.0 25133 c7fe45cf4b819c5991fe208aaa96edf142730f1d)"
	.section	".note.GNU-stack","",@progbits
	.addrsig
	.addrsig_sym __hip_cuid_ff60e348f7e7385c
	.amdgpu_metadata
---
amdhsa.kernels:
  - .args:
      - .actual_access:  read_only
        .address_space:  global
        .offset:         0
        .size:           8
        .value_kind:     global_buffer
      - .offset:         8
        .size:           8
        .value_kind:     by_value
      - .actual_access:  read_only
        .address_space:  global
        .offset:         16
        .size:           8
        .value_kind:     global_buffer
      - .actual_access:  read_only
        .address_space:  global
        .offset:         24
        .size:           8
        .value_kind:     global_buffer
      - .offset:         32
        .size:           8
        .value_kind:     by_value
      - .actual_access:  read_only
        .address_space:  global
        .offset:         40
        .size:           8
        .value_kind:     global_buffer
      - .actual_access:  read_only
        .address_space:  global
        .offset:         48
        .size:           8
        .value_kind:     global_buffer
      - .offset:         56
        .size:           4
        .value_kind:     by_value
      - .actual_access:  read_only
        .address_space:  global
        .offset:         64
        .size:           8
        .value_kind:     global_buffer
      - .actual_access:  read_only
        .address_space:  global
        .offset:         72
        .size:           8
        .value_kind:     global_buffer
      - .address_space:  global
        .offset:         80
        .size:           8
        .value_kind:     global_buffer
    .group_segment_fixed_size: 0
    .kernarg_segment_align: 8
    .kernarg_segment_size: 88
    .language:       OpenCL C
    .language_version:
      - 2
      - 0
    .max_flat_workgroup_size: 108
    .name:           fft_rtc_fwd_len3240_factors_3_3_10_6_6_wgs_108_tpt_108_halfLds_dp_ip_CI_unitstride_sbrr_C2R_dirReg
    .private_segment_fixed_size: 12
    .sgpr_count:     24
    .sgpr_spill_count: 0
    .symbol:         fft_rtc_fwd_len3240_factors_3_3_10_6_6_wgs_108_tpt_108_halfLds_dp_ip_CI_unitstride_sbrr_C2R_dirReg.kd
    .uniform_work_group_size: 1
    .uses_dynamic_stack: false
    .vgpr_count:     256
    .vgpr_spill_count: 2
    .wavefront_size: 32
    .workgroup_processor_mode: 1
amdhsa.target:   amdgcn-amd-amdhsa--gfx1100
amdhsa.version:
  - 1
  - 2
...

	.end_amdgpu_metadata
